;; amdgpu-corpus repo=ROCm/rocFFT kind=compiled arch=gfx1030 opt=O3
	.text
	.amdgcn_target "amdgcn-amd-amdhsa--gfx1030"
	.amdhsa_code_object_version 6
	.protected	bluestein_single_back_len1320_dim1_half_op_CI_CI ; -- Begin function bluestein_single_back_len1320_dim1_half_op_CI_CI
	.globl	bluestein_single_back_len1320_dim1_half_op_CI_CI
	.p2align	8
	.type	bluestein_single_back_len1320_dim1_half_op_CI_CI,@function
bluestein_single_back_len1320_dim1_half_op_CI_CI: ; @bluestein_single_back_len1320_dim1_half_op_CI_CI
; %bb.0:
	s_load_dwordx4 s[0:3], s[4:5], 0x28
	v_mul_u32_u24_e32 v1, 0x18e, v0
	v_mov_b32_e32 v15, 0
	v_lshrrev_b32_e32 v1, 16, v1
	v_add_nc_u32_e32 v14, s6, v1
	s_waitcnt lgkmcnt(0)
	v_cmp_gt_u64_e32 vcc_lo, s[0:1], v[14:15]
	s_and_saveexec_b32 s0, vcc_lo
	s_cbranch_execz .LBB0_31
; %bb.1:
	s_clause 0x1
	s_load_dwordx2 s[14:15], s[4:5], 0x0
	s_load_dwordx2 s[12:13], s[4:5], 0x38
	v_mul_lo_u16 v1, 0xa5, v1
	v_sub_nc_u16 v0, v0, v1
	v_and_b32_e32 v32, 0xffff, v0
	v_cmp_gt_u16_e32 vcc_lo, 0x78, v0
	v_lshlrev_b32_e32 v31, 2, v32
	s_and_saveexec_b32 s1, vcc_lo
	s_cbranch_execz .LBB0_3
; %bb.2:
	s_load_dwordx2 s[6:7], s[4:5], 0x18
	v_add_nc_u32_e32 v28, 0x600, v31
	s_waitcnt lgkmcnt(0)
	s_load_dwordx4 s[8:11], s[6:7], 0x0
	s_clause 0x4
	global_load_dword v8, v31, s[14:15]
	global_load_dword v9, v31, s[14:15] offset:480
	global_load_dword v10, v31, s[14:15] offset:960
	global_load_dword v11, v31, s[14:15] offset:1440
	global_load_dword v12, v31, s[14:15] offset:1920
	s_waitcnt lgkmcnt(0)
	v_mad_u64_u32 v[0:1], null, s10, v14, 0
	v_mad_u64_u32 v[2:3], null, s8, v32, 0
	s_mul_i32 s6, s9, 0x1e0
	s_mul_hi_u32 s7, s8, 0x1e0
	s_add_i32 s7, s7, s6
	v_mad_u64_u32 v[4:5], null, s11, v14, v[1:2]
	v_mad_u64_u32 v[5:6], null, s9, v32, v[3:4]
	v_mov_b32_e32 v1, v4
	v_add_co_u32 v6, s0, s14, v31
	v_add_co_ci_u32_e64 v7, null, s15, 0, s0
	v_lshlrev_b64 v[0:1], 2, v[0:1]
	v_mov_b32_e32 v3, v5
	v_add_co_u32 v0, s0, s2, v0
	v_lshlrev_b64 v[2:3], 2, v[2:3]
	v_add_co_ci_u32_e64 v1, s0, s3, v1, s0
	s_mul_i32 s2, s8, 0x1e0
	v_add_co_u32 v0, s0, v0, v2
	v_add_co_ci_u32_e64 v1, s0, v1, v3, s0
	v_add_co_u32 v2, s0, v0, s2
	v_add_co_ci_u32_e64 v3, s0, s7, v1, s0
	s_clause 0x1
	global_load_dword v13, v[0:1], off
	global_load_dword v15, v[2:3], off
	v_add_co_u32 v0, s0, v2, s2
	v_add_co_ci_u32_e64 v1, s0, s7, v3, s0
	v_add_co_u32 v2, s0, v0, s2
	v_add_co_ci_u32_e64 v3, s0, s7, v1, s0
	v_add_co_u32 v4, s0, 0x800, v6
	v_add_co_ci_u32_e64 v5, s0, 0, v7, s0
	s_clause 0x1
	global_load_dword v16, v[0:1], off
	global_load_dword v17, v[2:3], off
	v_add_co_u32 v0, s0, v2, s2
	v_add_co_ci_u32_e64 v1, s0, s7, v3, s0
	s_clause 0x3
	global_load_dword v18, v[4:5], off offset:352
	global_load_dword v19, v[4:5], off offset:832
	;; [unrolled: 1-line block ×4, first 2 shown]
	v_add_co_u32 v2, s0, v0, s2
	v_add_co_ci_u32_e64 v3, s0, s7, v1, s0
	global_load_dword v22, v[0:1], off
	v_add_co_u32 v0, s0, v2, s2
	v_add_co_ci_u32_e64 v1, s0, s7, v3, s0
	global_load_dword v23, v[2:3], off
	;; [unrolled: 3-line block ×5, first 2 shown]
	v_add_co_u32 v0, s0, v2, s2
	v_add_co_ci_u32_e64 v1, s0, s7, v3, s0
	v_add_co_u32 v4, s0, 0x1000, v6
	v_add_co_ci_u32_e64 v5, s0, 0, v7, s0
	global_load_dword v2, v[2:3], off
	global_load_dword v0, v[0:1], off
	s_clause 0x1
	global_load_dword v1, v[4:5], off offset:224
	global_load_dword v3, v[4:5], off offset:704
	v_add_nc_u32_e32 v5, 0x200, v31
	s_waitcnt vmcnt(16)
	v_lshrrev_b32_e32 v4, 16, v13
	v_mul_f16_sdwa v6, v8, v13 dst_sel:DWORD dst_unused:UNUSED_PAD src0_sel:WORD_1 src1_sel:DWORD
	s_waitcnt vmcnt(15)
	v_lshrrev_b32_e32 v27, 16, v15
	v_mul_f16_sdwa v29, v9, v15 dst_sel:DWORD dst_unused:UNUSED_PAD src0_sel:WORD_1 src1_sel:DWORD
	v_mul_f16_sdwa v7, v8, v4 dst_sel:DWORD dst_unused:UNUSED_PAD src0_sel:WORD_1 src1_sel:DWORD
	v_fma_f16 v4, v8, v4, -v6
	v_mul_f16_sdwa v6, v9, v27 dst_sel:DWORD dst_unused:UNUSED_PAD src0_sel:WORD_1 src1_sel:DWORD
	v_fmac_f16_e32 v7, v8, v13
	v_fma_f16 v13, v9, v27, -v29
	v_fmac_f16_e32 v6, v9, v15
	v_pack_b32_f16 v4, v7, v4
	s_waitcnt vmcnt(14)
	v_lshrrev_b32_e32 v8, 16, v16
	v_mul_f16_sdwa v27, v10, v16 dst_sel:DWORD dst_unused:UNUSED_PAD src0_sel:WORD_1 src1_sel:DWORD
	s_waitcnt vmcnt(13)
	v_lshrrev_b32_e32 v9, 16, v17
	v_mul_f16_sdwa v15, v11, v17 dst_sel:DWORD dst_unused:UNUSED_PAD src0_sel:WORD_1 src1_sel:DWORD
	v_pack_b32_f16 v6, v6, v13
	v_mul_f16_sdwa v7, v10, v8 dst_sel:DWORD dst_unused:UNUSED_PAD src0_sel:WORD_1 src1_sel:DWORD
	v_fma_f16 v8, v10, v8, -v27
	ds_write2_b32 v31, v4, v6 offset1:120
	v_fmac_f16_e32 v7, v10, v16
	v_mul_f16_sdwa v10, v11, v9 dst_sel:DWORD dst_unused:UNUSED_PAD src0_sel:WORD_1 src1_sel:DWORD
	v_fma_f16 v9, v11, v9, -v15
	s_waitcnt vmcnt(8)
	v_lshrrev_b32_e32 v13, 16, v22
	v_mul_f16_sdwa v15, v12, v22 dst_sel:DWORD dst_unused:UNUSED_PAD src0_sel:WORD_1 src1_sel:DWORD
	v_pack_b32_f16 v4, v7, v8
	v_fmac_f16_e32 v10, v11, v17
	s_waitcnt vmcnt(7)
	v_lshrrev_b32_e32 v7, 16, v23
	v_mul_f16_sdwa v6, v12, v13 dst_sel:DWORD dst_unused:UNUSED_PAD src0_sel:WORD_1 src1_sel:DWORD
	v_mul_f16_sdwa v11, v18, v23 dst_sel:DWORD dst_unused:UNUSED_PAD src0_sel:WORD_1 src1_sel:DWORD
	v_fma_f16 v8, v12, v13, -v15
	v_pack_b32_f16 v9, v10, v9
	v_mul_f16_sdwa v10, v18, v7 dst_sel:DWORD dst_unused:UNUSED_PAD src0_sel:WORD_1 src1_sel:DWORD
	v_fmac_f16_e32 v6, v12, v22
	s_waitcnt vmcnt(6)
	v_lshrrev_b32_e32 v12, 16, v24
	v_fma_f16 v7, v18, v7, -v11
	v_mul_f16_sdwa v11, v19, v24 dst_sel:DWORD dst_unused:UNUSED_PAD src0_sel:WORD_1 src1_sel:DWORD
	v_fmac_f16_e32 v10, v18, v23
	s_waitcnt vmcnt(5)
	v_lshrrev_b32_e32 v13, 16, v25
	v_pack_b32_f16 v6, v6, v8
	v_mul_f16_sdwa v8, v19, v12 dst_sel:DWORD dst_unused:UNUSED_PAD src0_sel:WORD_1 src1_sel:DWORD
	v_fma_f16 v11, v19, v12, -v11
	v_mul_f16_sdwa v12, v20, v25 dst_sel:DWORD dst_unused:UNUSED_PAD src0_sel:WORD_1 src1_sel:DWORD
	v_pack_b32_f16 v7, v10, v7
	v_mul_f16_sdwa v10, v20, v13 dst_sel:DWORD dst_unused:UNUSED_PAD src0_sel:WORD_1 src1_sel:DWORD
	v_fmac_f16_e32 v8, v19, v24
	s_waitcnt vmcnt(4)
	v_lshrrev_b32_e32 v15, 16, v26
	v_fma_f16 v12, v20, v13, -v12
	v_mul_f16_sdwa v13, v21, v26 dst_sel:DWORD dst_unused:UNUSED_PAD src0_sel:WORD_1 src1_sel:DWORD
	v_fmac_f16_e32 v10, v20, v25
	s_waitcnt vmcnt(3)
	v_lshrrev_b32_e32 v16, 16, v2
	s_waitcnt vmcnt(2)
	v_lshrrev_b32_e32 v17, 16, v0
	v_pack_b32_f16 v8, v8, v11
	v_mul_f16_sdwa v11, v21, v15 dst_sel:DWORD dst_unused:UNUSED_PAD src0_sel:WORD_1 src1_sel:DWORD
	v_fma_f16 v13, v21, v15, -v13
	s_waitcnt vmcnt(1)
	v_mul_f16_sdwa v15, v1, v2 dst_sel:DWORD dst_unused:UNUSED_PAD src0_sel:WORD_1 src1_sel:DWORD
	v_pack_b32_f16 v10, v10, v12
	v_mul_f16_sdwa v12, v1, v16 dst_sel:DWORD dst_unused:UNUSED_PAD src0_sel:WORD_1 src1_sel:DWORD
	s_waitcnt vmcnt(0)
	v_mul_f16_sdwa v18, v3, v17 dst_sel:DWORD dst_unused:UNUSED_PAD src0_sel:WORD_1 src1_sel:DWORD
	v_mul_f16_sdwa v19, v3, v0 dst_sel:DWORD dst_unused:UNUSED_PAD src0_sel:WORD_1 src1_sel:DWORD
	v_fmac_f16_e32 v11, v21, v26
	v_fma_f16 v15, v1, v16, -v15
	v_fmac_f16_e32 v12, v1, v2
	v_fmac_f16_e32 v18, v3, v0
	v_fma_f16 v0, v3, v17, -v19
	v_add_nc_u32_e32 v1, 0xa00, v31
	v_pack_b32_f16 v2, v11, v13
	v_pack_b32_f16 v3, v12, v15
	v_add_nc_u32_e32 v11, 0xe00, v31
	v_pack_b32_f16 v0, v18, v0
	ds_write2_b32 v5, v4, v9 offset0:112 offset1:232
	ds_write2_b32 v28, v6, v7 offset0:96 offset1:216
	ds_write2_b32 v1, v8, v10 offset0:80 offset1:200
	ds_write2_b32 v11, v2, v3 offset0:64 offset1:184
	ds_write_b32 v31, v0 offset:4800
.LBB0_3:
	s_or_b32 exec_lo, exec_lo, s1
	s_clause 0x1
	s_load_dwordx2 s[0:1], s[4:5], 0x20
	s_load_dwordx2 s[2:3], s[4:5], 0x8
	v_mov_b32_e32 v0, 0
	s_waitcnt lgkmcnt(0)
	s_barrier
	buffer_gl0_inv
                                        ; implicit-def: $vgpr18
                                        ; implicit-def: $vgpr3
                                        ; implicit-def: $vgpr5
                                        ; implicit-def: $vgpr7
                                        ; implicit-def: $vgpr9
                                        ; kill: def $vgpr1 killed $sgpr0 killed $exec
	s_and_saveexec_b32 s4, vcc_lo
	s_cbranch_execz .LBB0_5
; %bb.4:
	v_add_nc_u32_e32 v2, 0x200, v31
	v_add_nc_u32_e32 v3, 0x600, v31
	;; [unrolled: 1-line block ×4, first 2 shown]
	ds_read2_b32 v[0:1], v31 offset1:120
	ds_read2_b32 v[8:9], v2 offset0:112 offset1:232
	ds_read2_b32 v[6:7], v3 offset0:96 offset1:216
	ds_read2_b32 v[4:5], v4 offset0:80 offset1:200
	ds_read2_b32 v[2:3], v10 offset0:64 offset1:184
	ds_read_b32 v18, v31 offset:4800
.LBB0_5:
	s_or_b32 exec_lo, exec_lo, s4
	s_waitcnt lgkmcnt(0)
	v_pk_add_f16 v16, v1, v18 neg_lo:[0,1] neg_hi:[0,1]
	v_mov_b32_e32 v10, 0xb853
	v_pk_add_f16 v15, v18, v1
	v_mov_b32_e32 v11, 0xbbeb
	v_pk_add_f16 v19, v8, v3 neg_lo:[0,1] neg_hi:[0,1]
	v_mov_b32_e32 v12, 0xbb47
	v_mul_f16_sdwa v27, v16, v10 dst_sel:DWORD dst_unused:UNUSED_PAD src0_sel:WORD_1 src1_sel:DWORD
	v_lshrrev_b32_e32 v47, 16, v15
	v_mul_f16_e32 v38, 0xbb47, v16
	v_pk_mul_f16 v13, 0x3abb36a6, v15
	v_mul_f16_sdwa v40, v16, v11 dst_sel:DWORD dst_unused:UNUSED_PAD src0_sel:WORD_1 src1_sel:DWORD
	v_fmamk_f16 v20, v15, 0x3abb, v27
	v_mul_f16_sdwa v29, v19, v12 dst_sel:DWORD dst_unused:UNUSED_PAD src0_sel:WORD_1 src1_sel:DWORD
	v_pk_add_f16 v17, v3, v8
	v_mul_f16_e32 v44, 0xbbeb, v16
	v_pk_fma_f16 v26, 0xbb47b853, v16, v13 op_sel:[0,0,1] op_sel_hi:[1,1,0] neg_lo:[0,1,0] neg_hi:[0,1,0]
	v_add_f16_e32 v12, v20, v0
	v_fma_f16 v20, v47, 0x36a6, -v38
	v_fmamk_f16 v21, v15, 0xb08e, v40
	v_pk_fma_f16 v28, 0xbb47b853, v16, v13 op_sel:[0,0,1] op_sel_hi:[1,1,0]
	v_fma_f16 v22, v47, 0xb08e, -v44
	v_fmamk_f16 v23, v17, 0x36a6, v29
	v_add_f16_sdwa v13, v20, v0 dst_sel:DWORD dst_unused:UNUSED_PAD src0_sel:DWORD src1_sel:WORD_1
	v_mov_b32_e32 v20, 0x3482
	v_add_f16_e32 v24, v21, v0
	v_lshrrev_b32_e32 v53, 16, v17
	v_pk_add_f16 v21, v9, v2 neg_lo:[0,1] neg_hi:[0,1]
	v_mul_f16_e32 v41, 0xba0c, v19
	v_mul_f16_sdwa v46, v19, v20 dst_sel:DWORD dst_unused:UNUSED_PAD src0_sel:WORD_1 src1_sel:DWORD
	v_mul_f16_e32 v49, 0x3482, v19
	v_add_f16_sdwa v22, v22, v0 dst_sel:DWORD dst_unused:UNUSED_PAD src0_sel:DWORD src1_sel:WORD_1
	v_add_f16_e32 v12, v23, v12
	v_pk_mul_f16 v23, 0x36a6b93d, v17
	v_mul_f16_sdwa v33, v21, v11 dst_sel:DWORD dst_unused:UNUSED_PAD src0_sel:WORD_1 src1_sel:DWORD
	v_fma_f16 v11, v53, 0xb93d, -v41
	v_fmamk_f16 v25, v17, 0xbbad, v46
	v_fma_f16 v34, v53, 0xbbad, -v49
	v_pk_add_f16 v20, v2, v9
	v_pk_fma_f16 v30, 0xba0cbb47, v19, v23 op_sel:[0,0,1] op_sel_hi:[1,1,0] neg_lo:[0,1,0] neg_hi:[0,1,0]
	v_pk_fma_f16 v37, 0xba0cbb47, v19, v23 op_sel:[0,0,1] op_sel_hi:[1,1,0]
	v_add_f16_e32 v11, v11, v13
	v_add_f16_e32 v13, v25, v24
	v_add_f16_e32 v24, v34, v22
	v_mov_b32_e32 v22, 0x3b47
	v_pk_add_f16 v23, v6, v5 neg_lo:[0,1] neg_hi:[0,1]
	v_mov_b32_e32 v34, 0xba0c
	v_fmamk_f16 v35, v20, 0xb08e, v33
	v_lshrrev_b32_e32 v61, 16, v20
	v_mul_f16_e32 v43, 0x3482, v21
	v_mul_f16_sdwa v51, v21, v22 dst_sel:DWORD dst_unused:UNUSED_PAD src0_sel:WORD_1 src1_sel:DWORD
	v_mul_f16_e32 v56, 0x3b47, v21
	v_pk_add_f16 v22, v5, v6
	v_mul_f16_sdwa v39, v23, v34 dst_sel:DWORD dst_unused:UNUSED_PAD src0_sel:WORD_1 src1_sel:DWORD
	v_add_f16_e32 v12, v35, v12
	v_fma_f16 v25, v61, 0xbbad, -v43
	v_fmamk_f16 v35, v20, 0x36a6, v51
	v_fma_f16 v42, v61, 0x36a6, -v56
	v_fmamk_f16 v48, v22, 0xb93d, v39
	v_lshrrev_b32_e32 v62, 16, v22
	v_mul_f16_e32 v45, 0x3beb, v23
	v_add_f16_e32 v11, v25, v11
	v_add_f16_e32 v13, v35, v13
	;; [unrolled: 1-line block ×4, first 2 shown]
	v_fma_f16 v42, v62, 0xb08e, -v45
	v_mul_f16_sdwa v48, v23, v10 dst_sel:DWORD dst_unused:UNUSED_PAD src0_sel:WORD_1 src1_sel:DWORD
	v_pk_add_f16 v25, v7, v4 neg_lo:[0,1] neg_hi:[0,1]
	v_mov_b32_e32 v10, 0xb482
	v_mul_f16_e32 v63, 0xb853, v23
	v_pk_add_f16 v24, v4, v7
	v_add_f16_e32 v11, v42, v11
	v_fmamk_f16 v52, v22, 0x3abb, v48
	v_mul_f16_sdwa v42, v25, v10 dst_sel:DWORD dst_unused:UNUSED_PAD src0_sel:WORD_1 src1_sel:DWORD
	v_fma_f16 v10, v62, 0x3abb, -v63
	v_pk_mul_f16 v36, 0xb08ebbad, v20
	v_add_f16_sdwa v54, v26, v0 dst_sel:DWORD dst_unused:UNUSED_PAD src0_sel:DWORD src1_sel:WORD_1
	v_add_f16_e32 v13, v52, v13
	v_fmamk_f16 v52, v24, 0xbbad, v42
	v_add_f16_e32 v10, v10, v35
	v_pk_mul_f16 v58, 0xb93db08e, v22
	v_add_f16_e32 v55, v30, v54
	v_pk_fma_f16 v54, 0x3482bbeb, v21, v36 op_sel:[0,0,1] op_sel_hi:[1,1,0]
	v_add_f16_e32 v35, v52, v12
	v_add_f16_sdwa v12, v28, v0 dst_sel:DWORD dst_unused:UNUSED_PAD src0_sel:WORD_1 src1_sel:DWORD
	v_pk_fma_f16 v52, 0x3482bbeb, v21, v36 op_sel:[0,0,1] op_sel_hi:[1,1,0] neg_lo:[0,1,0] neg_hi:[0,1,0]
	v_lshrrev_b32_e32 v64, 16, v24
	v_mul_f16_e32 v50, 0x3853, v25
	v_mul_f16_sdwa v57, v25, v34 dst_sel:DWORD dst_unused:UNUSED_PAD src0_sel:WORD_1 src1_sel:DWORD
	v_add_f16_sdwa v12, v37, v12 dst_sel:DWORD dst_unused:UNUSED_PAD src0_sel:WORD_1 src1_sel:DWORD
	v_mul_f16_e32 v65, 0xba0c, v25
	v_add_f16_e32 v36, v52, v55
	v_pk_fma_f16 v55, 0x3bebba0c, v23, v58 op_sel:[0,0,1] op_sel_hi:[1,1,0] neg_lo:[0,1,0] neg_hi:[0,1,0]
	v_pk_mul_f16 v60, 0xbbad3abb, v24
	v_pk_fma_f16 v59, 0x3bebba0c, v23, v58 op_sel:[0,0,1] op_sel_hi:[1,1,0]
	v_add_f16_sdwa v12, v54, v12 dst_sel:DWORD dst_unused:UNUSED_PAD src0_sel:WORD_1 src1_sel:DWORD
	v_fma_f16 v34, v64, 0x3abb, -v50
	v_fmamk_f16 v66, v24, 0xb93d, v57
	v_fma_f16 v67, v64, 0xb93d, -v65
	v_add_f16_e32 v36, v55, v36
	v_pk_fma_f16 v58, 0x3853b482, v25, v60 op_sel:[0,0,1] op_sel_hi:[1,1,0] neg_lo:[0,1,0] neg_hi:[0,1,0]
	v_pk_fma_f16 v60, 0x3853b482, v25, v60 op_sel:[0,0,1] op_sel_hi:[1,1,0]
	v_add_f16_sdwa v68, v59, v12 dst_sel:DWORD dst_unused:UNUSED_PAD src0_sel:WORD_1 src1_sel:DWORD
	v_add_f16_e32 v11, v34, v11
	v_add_f16_e32 v12, v66, v13
	;; [unrolled: 1-line block ×4, first 2 shown]
	v_add_f16_sdwa v10, v60, v68 dst_sel:DWORD dst_unused:UNUSED_PAD src0_sel:WORD_1 src1_sel:DWORD
	v_mul_lo_u16 v34, v32, 11
	s_barrier
	buffer_gl0_inv
	s_and_saveexec_b32 s4, vcc_lo
	s_cbranch_execz .LBB0_7
; %bb.6:
	v_mul_f16_e32 v68, 0x36a6, v47
	v_mul_f16_e32 v47, 0xb08e, v47
	;; [unrolled: 1-line block ×3, first 2 shown]
	v_pk_add_f16 v1, v1, v0
	v_mul_f16_e32 v53, 0xbbad, v53
	v_add_f16_e32 v38, v38, v68
	v_mul_f16_e32 v74, 0xbbad, v61
	v_add_f16_e32 v44, v44, v47
	v_add_f16_e32 v41, v41, v71
	v_pk_add_f16 v1, v8, v1
	v_add_f16_sdwa v38, v38, v0 dst_sel:DWORD dst_unused:UNUSED_PAD src0_sel:DWORD src1_sel:WORD_1
	v_mul_f16_e32 v66, 0x3abb, v15
	v_mul_f16_e32 v61, 0x36a6, v61
	;; [unrolled: 1-line block ×3, first 2 shown]
	v_add_f16_sdwa v44, v44, v0 dst_sel:DWORD dst_unused:UNUSED_PAD src0_sel:DWORD src1_sel:WORD_1
	v_add_f16_e32 v49, v49, v53
	v_add_f16_e32 v38, v41, v38
	;; [unrolled: 1-line block ×3, first 2 shown]
	v_pk_add_f16 v1, v9, v1
	v_mul_f16_e32 v70, 0x36a6, v17
	v_add_f16_e32 v44, v49, v44
	v_add_f16_e32 v49, v56, v61
	v_mul_f16_e32 v56, 0x3abb, v64
	v_sub_f16_e32 v27, v66, v27
	v_add_f16_e32 v38, v41, v38
	v_add_f16_e32 v9, v45, v76
	v_pk_add_f16 v1, v6, v1
	v_mul_f16_e32 v73, 0xb08e, v20
	v_add_f16_e32 v27, v27, v0
	v_sub_f16_e32 v29, v70, v29
	v_add_f16_e32 v6, v9, v38
	v_add_f16_e32 v9, v50, v56
	v_pk_add_f16 v1, v7, v1
	v_bfi_b32 v7, 0xffff, v28, v26
	v_mul_f16_e32 v75, 0xb93d, v22
	v_add_f16_e32 v27, v29, v27
	v_sub_f16_e32 v29, v73, v33
	v_add_f16_e32 v6, v9, v6
	v_bfi_b32 v9, 0xffff, v37, v30
	v_pk_add_f16 v1, v4, v1
	v_pk_add_f16 v4, v7, v0 op_sel:[0,1] op_sel_hi:[1,0]
	v_mul_f16_e32 v77, 0xbbad, v24
	v_add_f16_e32 v26, v29, v27
	v_sub_f16_e32 v7, v75, v39
	v_bfi_b32 v27, 0xffff, v54, v52
	v_pk_add_f16 v1, v5, v1
	v_pk_add_f16 v4, v9, v4
	v_bfi_b32 v28, 0xffff, v59, v55
	v_add_f16_e32 v5, v7, v26
	v_sub_f16_e32 v7, v77, v42
	v_pk_add_f16 v1, v2, v1
	v_pk_add_f16 v2, v27, v4
	v_pk_mul_f16 v4, 0xbbad, v15 op_sel_hi:[0,1]
	v_alignbit_b32 v67, s0, v0, 16
	v_bfi_b32 v9, 0xffff, v60, v58
	v_add_f16_e32 v5, v7, v5
	v_mov_b32_e32 v7, 2
	v_pk_add_f16 v1, v3, v1
	v_pk_add_f16 v2, v28, v2
	v_pk_fma_f16 v3, 0xb482, v16, v4 op_sel:[0,0,1] op_sel_hi:[0,1,0] neg_lo:[0,1,0] neg_hi:[0,1,0]
	v_pk_mul_f16 v26, 0x3abb, v17 op_sel_hi:[0,1]
	v_lshlrev_b32_sdwa v7, v7, v34 dst_sel:DWORD dst_unused:UNUSED_PAD src0_sel:DWORD src1_sel:WORD_0
	v_pk_add_f16 v1, v18, v1
	v_pk_add_f16 v2, v9, v2
	v_pk_add_f16 v9, v3, v67
	v_pk_fma_f16 v18, 0x3853, v19, v26 op_sel:[0,0,1] op_sel_hi:[0,1,0] neg_lo:[0,1,0] neg_hi:[0,1,0]
	v_pk_mul_f16 v27, 0xb93d, v20 op_sel_hi:[0,1]
	v_alignbit_b32 v3, s0, v3, 16
	ds_write_b32 v7, v1
	v_pk_fma_f16 v1, 0xb482, v16, v4 op_sel:[0,0,1] op_sel_hi:[0,1,0]
	v_alignbit_b32 v4, v6, v2, 16
	v_pk_add_f16 v6, v18, v9
	v_pk_fma_f16 v9, 0xba0c, v21, v27 op_sel:[0,0,1] op_sel_hi:[0,1,0] neg_lo:[0,1,0] neg_hi:[0,1,0]
	v_pk_mul_f16 v28, 0x36a6, v22 op_sel_hi:[0,1]
	v_pk_add_f16 v3, v3, v0
	v_alignbit_b32 v18, s0, v18, 16
	v_pk_add_f16 v1, v1, v0 op_sel:[0,1] op_sel_hi:[1,0]
	v_pk_fma_f16 v26, 0x3853, v19, v26 op_sel:[0,0,1] op_sel_hi:[0,1,0]
	v_pack_b32_f16 v2, v5, v2
	v_pk_add_f16 v5, v9, v6
	v_pk_fma_f16 v6, 0x3b47, v23, v28 op_sel:[0,0,1] op_sel_hi:[0,1,0] neg_lo:[0,1,0] neg_hi:[0,1,0]
	v_pk_add_f16 v3, v18, v3
	v_alignbit_b32 v9, s0, v9, 16
	v_pk_mul_f16 v16, 0xba0c, v16 op_sel_hi:[0,1]
	v_mul_f16_e32 v69, 0xb08e, v15
	v_pk_add_f16 v1, v26, v1
	v_pk_fma_f16 v26, 0xba0c, v21, v27 op_sel:[0,0,1] op_sel_hi:[0,1,0]
	v_pk_add_f16 v5, v6, v5
	v_pk_add_f16 v3, v9, v3
	v_alignbit_b32 v6, s0, v6, 16
	v_pk_fma_f16 v9, 0xb93d, v15, v16 op_sel:[0,0,1] op_sel_hi:[0,1,0]
	v_pk_fma_f16 v15, 0xb93d, v15, v16 op_sel:[0,0,1] op_sel_hi:[0,1,0] neg_lo:[0,0,1] neg_hi:[0,0,1]
	v_mul_f16_e32 v72, 0xbbad, v17
	v_sub_f16_e32 v40, v69, v40
	v_pk_mul_f16 v27, 0xb08e, v24 op_sel_hi:[0,1]
	v_pk_add_f16 v1, v26, v1
	v_pk_fma_f16 v26, 0x3b47, v23, v28 op_sel:[0,0,1] op_sel_hi:[0,1,0]
	v_pk_mul_f16 v16, 0x3beb, v19 op_sel_hi:[0,1]
	v_pk_add_f16 v3, v6, v3
	v_bfi_b32 v6, 0xffff, v9, v15
	v_lshrrev_b32_e32 v9, 16, v9
	v_mul_f16_e32 v47, 0x36a6, v20
	v_add_f16_e32 v40, v40, v0
	v_sub_f16_e32 v46, v72, v46
	v_pk_add_f16 v1, v26, v1
	v_pk_fma_f16 v26, 0xbbeb, v25, v27 op_sel:[0,0,1] op_sel_hi:[0,1,0]
	v_pk_fma_f16 v19, 0xb08e, v17, v16 op_sel:[0,0,1] op_sel_hi:[0,1,0]
	v_pk_fma_f16 v16, 0xb08e, v17, v16 op_sel:[0,0,1] op_sel_hi:[0,1,0] neg_lo:[0,0,1] neg_hi:[0,0,1]
	v_pk_mul_f16 v17, 0xb853, v21 op_sel_hi:[0,1]
	v_pk_add_f16 v6, v6, v0
	v_add_f16_sdwa v9, v9, v0 dst_sel:DWORD dst_unused:UNUSED_PAD src0_sel:DWORD src1_sel:WORD_1
	v_add_f16_e32 v0, v15, v0
	v_mul_f16_e32 v53, 0x3abb, v22
	v_mul_f16_e32 v62, 0x3abb, v62
	v_add_f16_e32 v40, v46, v40
	v_sub_f16_e32 v46, v47, v51
	v_pk_add_f16 v1, v26, v1
	v_bfi_b32 v21, 0xffff, v19, v16
	v_pk_fma_f16 v26, 0x3abb, v20, v17 op_sel:[0,0,1] op_sel_hi:[0,1,0]
	v_pk_fma_f16 v17, 0x3abb, v20, v17 op_sel:[0,0,1] op_sel_hi:[0,1,0] neg_lo:[0,0,1] neg_hi:[0,0,1]
	v_pk_mul_f16 v20, 0xb482, v23 op_sel_hi:[0,1]
	v_add_f16_sdwa v9, v19, v9 dst_sel:DWORD dst_unused:UNUSED_PAD src0_sel:WORD_1 src1_sel:DWORD
	v_add_f16_e32 v0, v16, v0
	v_pk_fma_f16 v18, 0xbbeb, v25, v27 op_sel:[0,0,1] op_sel_hi:[0,1,0] neg_lo:[0,1,0] neg_hi:[0,1,0]
	v_mul_f16_e32 v61, 0xb93d, v24
	v_add_f16_e32 v44, v49, v44
	v_add_f16_e32 v49, v63, v62
	v_mul_f16_e32 v62, 0xb93d, v64
	v_add_f16_e32 v40, v46, v40
	v_sub_f16_e32 v46, v53, v48
	v_pk_add_f16 v6, v21, v6
	v_bfi_b32 v15, 0xffff, v26, v17
	v_pk_fma_f16 v21, 0xbbad, v22, v20 op_sel:[0,0,1] op_sel_hi:[0,1,0]
	v_pk_fma_f16 v16, 0xbbad, v22, v20 op_sel:[0,0,1] op_sel_hi:[0,1,0] neg_lo:[0,0,1] neg_hi:[0,0,1]
	v_pk_mul_f16 v19, 0x3b47, v25 op_sel_hi:[0,1]
	v_add_f16_sdwa v9, v26, v9 dst_sel:DWORD dst_unused:UNUSED_PAD src0_sel:WORD_1 src1_sel:DWORD
	v_add_f16_e32 v0, v17, v0
	v_pk_add_f16 v5, v18, v5
	v_alignbit_b32 v18, s0, v18, 16
	v_add_f16_e32 v44, v49, v44
	v_add_f16_e32 v47, v65, v62
	;; [unrolled: 1-line block ×3, first 2 shown]
	v_sub_f16_e32 v40, v61, v57
	v_pk_add_f16 v6, v15, v6
	v_bfi_b32 v15, 0xffff, v21, v16
	v_pk_fma_f16 v17, 0x36a6, v24, v19 op_sel:[0,0,1] op_sel_hi:[0,1,0]
	v_pk_fma_f16 v19, 0x36a6, v24, v19 op_sel:[0,0,1] op_sel_hi:[0,1,0] neg_lo:[0,0,1] neg_hi:[0,0,1]
	v_add_f16_sdwa v9, v21, v9 dst_sel:DWORD dst_unused:UNUSED_PAD src0_sel:WORD_1 src1_sel:DWORD
	v_add_f16_e32 v0, v16, v0
	v_pk_add_f16 v3, v18, v3
	v_add_f16_e32 v44, v47, v44
	v_add_f16_e32 v8, v40, v8
	v_pk_add_f16 v6, v15, v6
	v_bfi_b32 v15, 0xffff, v17, v19
	v_add_f16_sdwa v9, v17, v9 dst_sel:DWORD dst_unused:UNUSED_PAD src0_sel:WORD_1 src1_sel:DWORD
	v_add_f16_e32 v0, v19, v0
	v_alignbit_b32 v5, v5, v1, 16
	v_pack_b32_f16 v1, v3, v1
	v_pk_add_f16 v3, v15, v6
	v_pack_b32_f16 v6, v8, v44
	v_pack_b32_f16 v0, v0, v9
	v_perm_b32 v8, v13, v12, 0x5040100
	v_perm_b32 v9, v36, v35, 0x5040100
	;; [unrolled: 1-line block ×3, first 2 shown]
	ds_write2_b32 v7, v2, v4 offset0:1 offset1:2
	ds_write2_b32 v7, v1, v5 offset0:5 offset1:6
	;; [unrolled: 1-line block ×5, first 2 shown]
.LBB0_7:
	s_or_b32 exec_lo, exec_lo, s4
	v_and_b32_e32 v0, 0xff, v32
	v_add_nc_u16 v4, v32, 0xa5
	v_add_nc_u16 v5, v32, 0x14a
	v_mov_b32_e32 v6, 2
	s_load_dwordx4 s[4:7], s[0:1], 0x0
	v_mul_lo_u16 v0, 0x75, v0
	s_waitcnt lgkmcnt(0)
	s_barrier
	buffer_gl0_inv
	v_lshlrev_b32_sdwa v33, v6, v32 dst_sel:DWORD dst_unused:UNUSED_PAD src0_sel:DWORD src1_sel:WORD_0
	v_lshrrev_b16 v0, 8, v0
	v_mov_b32_e32 v26, 22
	v_cmp_gt_u16_e64 s0, 0x6e, v32
	v_add_nc_u32_e32 v7, 0x400, v33
	v_sub_nc_u16 v1, v32, v0
	v_add_nc_u32_e32 v17, 0xf00, v33
	v_add_nc_u32_e32 v27, 0x600, v33
	v_add_nc_u32_e32 v28, 0xd00, v33
	v_lshrrev_b16 v1, 1, v1
	v_and_b32_e32 v1, 0x7f, v1
	v_add_nc_u16 v0, v1, v0
	v_mov_b32_e32 v1, 0xba2f
	v_lshrrev_b16 v9, 3, v0
	v_add_co_u32 v0, null, 0x1ef, v32
	v_mul_u32_u24_sdwa v16, v4, v1 dst_sel:DWORD dst_unused:UNUSED_PAD src0_sel:WORD_0 src1_sel:DWORD
	v_mul_u32_u24_sdwa v15, v5, v1 dst_sel:DWORD dst_unused:UNUSED_PAD src0_sel:WORD_0 src1_sel:DWORD
	v_mul_lo_u16 v2, v9, 11
	v_mul_u32_u24_sdwa v1, v0, v1 dst_sel:DWORD dst_unused:UNUSED_PAD src0_sel:WORD_0 src1_sel:DWORD
	v_mul_u32_u24_sdwa v9, v9, v26 dst_sel:DWORD dst_unused:UNUSED_PAD src0_sel:WORD_0 src1_sel:DWORD
	v_lshrrev_b32_e32 v19, 19, v16
	v_lshrrev_b32_e32 v20, 19, v15
	v_sub_nc_u16 v2, v32, v2
	v_lshrrev_b32_e32 v21, 19, v1
	v_mul_lo_u16 v1, v19, 11
	v_mul_lo_u16 v3, v20, 11
	v_and_b32_e32 v22, 0xff, v2
	v_mul_lo_u16 v2, v21, 11
	v_sub_nc_u16 v23, v4, v1
	v_sub_nc_u16 v24, v5, v3
	v_lshlrev_b32_e32 v1, 2, v22
	v_sub_nc_u16 v25, v0, v2
	v_add_lshl_u32 v46, v9, v22, 2
	v_lshlrev_b32_sdwa v0, v6, v23 dst_sel:DWORD dst_unused:UNUSED_PAD src0_sel:DWORD src1_sel:WORD_0
	v_lshlrev_b32_sdwa v2, v6, v24 dst_sel:DWORD dst_unused:UNUSED_PAD src0_sel:DWORD src1_sel:WORD_0
	global_load_dword v39, v1, s[2:3]
	v_lshlrev_b32_sdwa v1, v6, v25 dst_sel:DWORD dst_unused:UNUSED_PAD src0_sel:DWORD src1_sel:WORD_0
	v_mad_u16 v19, v19, 22, v23
	s_clause 0x2
	global_load_dword v40, v0, s[2:3]
	global_load_dword v41, v2, s[2:3]
	;; [unrolled: 1-line block ×3, first 2 shown]
	v_add_nc_u32_e32 v2, 0xa00, v33
	ds_read2_b32 v[0:1], v33 offset1:165
	v_mad_u16 v20, v20, 22, v24
	ds_read2_b32 v[2:3], v2 offset0:20 offset1:185
	ds_read2_b32 v[7:8], v7 offset0:74 offset1:239
	;; [unrolled: 1-line block ×3, first 2 shown]
	v_lshlrev_b32_sdwa v43, v6, v19 dst_sel:DWORD dst_unused:UNUSED_PAD src0_sel:DWORD src1_sel:WORD_0
	v_lshlrev_b32_sdwa v44, v6, v20 dst_sel:DWORD dst_unused:UNUSED_PAD src0_sel:DWORD src1_sel:WORD_0
	v_mad_u16 v21, v21, 22, v25
	s_waitcnt vmcnt(0) lgkmcnt(0)
	s_barrier
	buffer_gl0_inv
	v_lshlrev_b32_sdwa v45, v6, v21 dst_sel:DWORD dst_unused:UNUSED_PAD src0_sel:DWORD src1_sel:WORD_0
	v_lshrrev_b32_e32 v23, 16, v0
	v_lshrrev_b32_e32 v25, 16, v1
	;; [unrolled: 1-line block ×8, first 2 shown]
	v_mul_f16_sdwa v9, v19, v39 dst_sel:DWORD dst_unused:UNUSED_PAD src0_sel:DWORD src1_sel:WORD_1
	v_mul_f16_sdwa v22, v2, v39 dst_sel:DWORD dst_unused:UNUSED_PAD src0_sel:DWORD src1_sel:WORD_1
	;; [unrolled: 1-line block ×8, first 2 shown]
	v_fma_f16 v2, v2, v39, -v9
	v_fmac_f16_e32 v22, v19, v39
	v_fma_f16 v3, v3, v40, -v30
	v_fmac_f16_e32 v37, v20, v40
	;; [unrolled: 2-line block ×4, first 2 shown]
	v_sub_f16_e32 v2, v0, v2
	v_sub_f16_e32 v18, v23, v22
	;; [unrolled: 1-line block ×8, first 2 shown]
	v_fma_f16 v0, v0, 2.0, -v2
	v_fma_f16 v17, v23, 2.0, -v18
	v_fma_f16 v1, v1, 2.0, -v3
	v_fma_f16 v23, v25, 2.0, -v19
	v_fma_f16 v7, v7, 2.0, -v20
	v_fma_f16 v25, v21, 2.0, -v29
	v_fma_f16 v9, v8, 2.0, -v22
	v_fma_f16 v21, v26, 2.0, -v24
	v_pack_b32_f16 v2, v2, v18
	v_pack_b32_f16 v0, v0, v17
	;; [unrolled: 1-line block ×8, first 2 shown]
	ds_write2_b32 v46, v0, v2 offset1:11
	ds_write2_b32 v43, v1, v3 offset1:11
	;; [unrolled: 1-line block ×4, first 2 shown]
	s_waitcnt lgkmcnt(0)
	s_barrier
	buffer_gl0_inv
	ds_read2_b32 v[7:8], v33 offset1:165
	ds_read2_b32 v[2:3], v27 offset0:56 offset1:221
	ds_read2_b32 v[0:1], v28 offset0:48 offset1:213
	s_and_saveexec_b32 s1, s0
	s_cbranch_execz .LBB0_9
; %bb.8:
	ds_read_b32 v9, v33 offset:1320
	ds_read_b32 v22, v33 offset:3080
	;; [unrolled: 1-line block ×3, first 2 shown]
	s_waitcnt lgkmcnt(2)
	v_lshrrev_b32_e32 v21, 16, v9
	s_waitcnt lgkmcnt(1)
	v_lshrrev_b32_e32 v24, 16, v22
	;; [unrolled: 2-line block ×3, first 2 shown]
.LBB0_9:
	s_or_b32 exec_lo, exec_lo, s1
	v_lshrrev_b16 v17, 1, v32
	v_lshrrev_b32_e32 v23, 20, v16
	v_lshrrev_b32_e32 v37, 20, v15
	s_waitcnt lgkmcnt(1)
	v_lshrrev_b32_e32 v30, 16, v2
	s_waitcnt lgkmcnt(0)
	v_lshrrev_b32_e32 v47, 16, v0
	v_and_b32_e32 v17, 0x7f, v17
	v_mul_lo_u16 v15, v23, 22
	v_mul_lo_u16 v16, v37, 22
	v_lshrrev_b32_e32 v50, 16, v1
	v_mul_lo_u16 v17, 0xbb, v17
	v_sub_nc_u16 v28, v4, v15
	v_sub_nc_u16 v38, v5, v16
	v_lshrrev_b16 v27, 11, v17
	v_lshlrev_b16 v16, 3, v28
	v_mad_u16 v28, 0x42, v23, v28
	v_lshrrev_b32_e32 v23, 16, v8
	v_mul_lo_u16 v17, v27, 22
	v_lshlrev_b32_sdwa v48, v6, v28 dst_sel:DWORD dst_unused:UNUSED_PAD src0_sel:DWORD src1_sel:WORD_0
	v_sub_nc_u16 v15, v32, v17
	v_lshlrev_b16 v17, 3, v38
	v_and_b32_e32 v29, 0xff, v15
	v_and_b32_e32 v15, 0xffff, v16
	;; [unrolled: 1-line block ×3, first 2 shown]
	v_lshlrev_b32_e32 v18, 3, v29
	v_add_co_u32 v15, s1, s2, v15
	v_add_co_ci_u32_e64 v16, null, s3, 0, s1
	v_add_co_u32 v25, s1, s2, v17
	v_add_co_ci_u32_e64 v26, null, s3, 0, s1
	s_clause 0x2
	global_load_dwordx2 v[19:20], v18, s[2:3] offset:44
	global_load_dwordx2 v[17:18], v[15:16], off offset:44
	global_load_dwordx2 v[15:16], v[25:26], off offset:44
	v_mov_b32_e32 v25, 0x42
	v_lshrrev_b32_e32 v26, 16, v7
	s_waitcnt vmcnt(0)
	s_barrier
	buffer_gl0_inv
	v_mul_u32_u24_sdwa v25, v27, v25 dst_sel:DWORD dst_unused:UNUSED_PAD src0_sel:WORD_0 src1_sel:DWORD
	v_lshrrev_b32_e32 v27, 16, v3
	v_add_lshl_u32 v49, v25, v29, 2
	v_mul_f16_sdwa v6, v30, v19 dst_sel:DWORD dst_unused:UNUSED_PAD src0_sel:DWORD src1_sel:WORD_1
	v_mul_f16_sdwa v25, v2, v19 dst_sel:DWORD dst_unused:UNUSED_PAD src0_sel:DWORD src1_sel:WORD_1
	;; [unrolled: 1-line block ×12, first 2 shown]
	v_fma_f16 v2, v2, v19, -v6
	v_fmac_f16_e32 v25, v30, v19
	v_fma_f16 v0, v0, v20, -v28
	v_fmac_f16_e32 v29, v47, v20
	;; [unrolled: 2-line block ×6, first 2 shown]
	v_add_f16_e32 v22, v2, v0
	v_sub_f16_e32 v27, v25, v29
	v_add_f16_e32 v24, v26, v25
	v_add_f16_e32 v25, v25, v29
	;; [unrolled: 1-line block ×5, first 2 shown]
	v_sub_f16_e32 v2, v2, v0
	v_sub_f16_e32 v47, v52, v54
	v_add_f16_e32 v50, v23, v52
	v_add_f16_e32 v52, v9, v6
	;; [unrolled: 1-line block ×3, first 2 shown]
	v_sub_f16_e32 v55, v56, v58
	v_add_f16_e32 v57, v21, v56
	v_add_f16_e32 v56, v56, v58
	v_fma_f16 v7, -0.5, v22, v7
	v_fmac_f16_e32 v26, -0.5, v25
	v_add_f16_e32 v28, v8, v3
	v_sub_f16_e32 v3, v3, v1
	v_fmac_f16_e32 v8, -0.5, v30
	v_fmac_f16_e32 v23, -0.5, v51
	v_sub_f16_e32 v6, v6, v12
	v_add_f16_e32 v0, v13, v0
	v_add_f16_e32 v29, v24, v29
	;; [unrolled: 1-line block ×3, first 2 shown]
	v_fmac_f16_e32 v9, -0.5, v53
	v_fmac_f16_e32 v21, -0.5, v56
	v_fmamk_f16 v12, v27, 0x3aee, v7
	v_fmac_f16_e32 v7, 0xbaee, v27
	v_fmamk_f16 v27, v2, 0xbaee, v26
	v_fmac_f16_e32 v26, 0x3aee, v2
	v_add_f16_e32 v1, v28, v1
	v_add_f16_e32 v28, v50, v54
	v_fmamk_f16 v2, v47, 0x3aee, v8
	v_fmamk_f16 v30, v3, 0xbaee, v23
	v_fmac_f16_e32 v8, 0xbaee, v47
	v_fmac_f16_e32 v23, 0x3aee, v3
	v_add_f16_e32 v24, v57, v58
	v_fmamk_f16 v22, v55, 0x3aee, v9
	v_fmac_f16_e32 v9, 0xbaee, v55
	v_fmamk_f16 v25, v6, 0xbaee, v21
	v_pack_b32_f16 v0, v0, v29
	v_pack_b32_f16 v3, v12, v27
	v_fmac_f16_e32 v21, 0x3aee, v6
	v_pack_b32_f16 v7, v7, v26
	v_pack_b32_f16 v1, v1, v28
	;; [unrolled: 1-line block ×4, first 2 shown]
	ds_write2_b32 v49, v0, v3 offset1:22
	ds_write_b32 v49, v7 offset:176
	ds_write2_b32 v48, v1, v2 offset1:22
	ds_write_b32 v48, v12 offset:176
	s_and_saveexec_b32 s1, s0
	s_cbranch_execz .LBB0_11
; %bb.10:
	v_mov_b32_e32 v0, 0xba2f
	v_mov_b32_e32 v1, 2
	v_perm_b32 v2, v24, v13, 0x5040100
	v_perm_b32 v3, v25, v22, 0x5040100
	v_mul_u32_u24_sdwa v0, v5, v0 dst_sel:DWORD dst_unused:UNUSED_PAD src0_sel:WORD_0 src1_sel:DWORD
	v_lshrrev_b32_e32 v0, 20, v0
	v_mad_u16 v0, 0x42, v0, v38
	v_lshlrev_b32_sdwa v0, v1, v0 dst_sel:DWORD dst_unused:UNUSED_PAD src0_sel:DWORD src1_sel:WORD_0
	v_perm_b32 v1, v21, v9, 0x5040100
	ds_write2_b32 v0, v2, v3 offset1:22
	ds_write_b32 v0, v1 offset:176
.LBB0_11:
	s_or_b32 exec_lo, exec_lo, s1
	s_waitcnt lgkmcnt(0)
	s_barrier
	buffer_gl0_inv
	ds_read_b32 v12, v33
	ds_read_b32 v29, v33 offset:1056
	ds_read_b32 v28, v33 offset:2112
	;; [unrolled: 1-line block ×4, first 2 shown]
	v_cmp_gt_u16_e64 s1, 0x63, v32
	s_and_saveexec_b32 s8, s1
	s_cbranch_execz .LBB0_13
; %bb.12:
	ds_read_b32 v8, v33 offset:660
	ds_read_b32 v13, v33 offset:1716
	;; [unrolled: 1-line block ×5, first 2 shown]
	s_waitcnt lgkmcnt(4)
	v_lshrrev_b32_e32 v23, 16, v8
	s_waitcnt lgkmcnt(3)
	v_lshrrev_b32_e32 v24, 16, v13
	;; [unrolled: 2-line block ×5, first 2 shown]
.LBB0_13:
	s_or_b32 exec_lo, exec_lo, s8
	v_and_b32_e32 v0, 0xff, v32
	v_mov_b32_e32 v1, 0xf83f
	v_mov_b32_e32 v52, 0x14a
	s_waitcnt lgkmcnt(3)
	v_lshrrev_b32_e32 v53, 16, v29
	s_waitcnt lgkmcnt(1)
	v_lshrrev_b32_e32 v54, 16, v27
	v_mul_lo_u16 v0, 0xf9, v0
	s_waitcnt lgkmcnt(0)
	v_lshrrev_b32_e32 v55, 16, v26
	v_lshrrev_b32_e32 v62, 16, v12
	v_lshrrev_b16 v30, 14, v0
	v_mul_u32_u24_sdwa v0, v4, v1 dst_sel:DWORD dst_unused:UNUSED_PAD src0_sel:WORD_0 src1_sel:DWORD
	v_mul_lo_u16 v1, 0x42, v30
	v_lshrrev_b32_e32 v47, 22, v0
	v_mul_u32_u24_sdwa v30, v30, v52 dst_sel:DWORD dst_unused:UNUSED_PAD src0_sel:WORD_0 src1_sel:DWORD
	v_lshrrev_b32_e32 v52, 16, v28
	v_sub_nc_u16 v0, v32, v1
	v_mul_lo_u16 v1, 0x42, v47
	v_and_b32_e32 v50, 0xff, v0
	v_sub_nc_u16 v51, v4, v1
	v_lshlrev_b32_e32 v0, 4, v50
	v_lshlrev_b16 v1, 4, v51
	v_mad_u16 v47, 0x14a, v47, v51
	v_add_lshl_u32 v50, v30, v50, 2
	global_load_dwordx4 v[4:7], v0, s[2:3] offset:220
	v_and_b32_e32 v0, 0xffff, v1
	v_add_co_u32 v0, s8, s2, v0
	v_add_co_ci_u32_e64 v1, null, s3, 0, s8
	global_load_dwordx4 v[0:3], v[0:1], off offset:220
	s_waitcnt vmcnt(0)
	s_barrier
	buffer_gl0_inv
	v_mul_f16_sdwa v30, v53, v4 dst_sel:DWORD dst_unused:UNUSED_PAD src0_sel:DWORD src1_sel:WORD_1
	v_mul_f16_sdwa v51, v29, v4 dst_sel:DWORD dst_unused:UNUSED_PAD src0_sel:DWORD src1_sel:WORD_1
	;; [unrolled: 1-line block ×8, first 2 shown]
	v_fma_f16 v61, v29, v4, -v30
	v_fmac_f16_e32 v51, v53, v4
	v_fma_f16 v53, v28, v5, -v56
	v_fmac_f16_e32 v57, v52, v5
	;; [unrolled: 2-line block ×4, first 2 shown]
	v_mul_f16_sdwa v30, v24, v0 dst_sel:DWORD dst_unused:UNUSED_PAD src0_sel:DWORD src1_sel:WORD_1
	v_mul_f16_sdwa v29, v13, v0 dst_sel:DWORD dst_unused:UNUSED_PAD src0_sel:DWORD src1_sel:WORD_1
	;; [unrolled: 1-line block ×8, first 2 shown]
	v_fma_f16 v30, v13, v0, -v30
	v_fmac_f16_e32 v29, v24, v0
	v_fma_f16 v24, v22, v1, -v54
	v_fmac_f16_e32 v28, v25, v1
	;; [unrolled: 2-line block ×4, first 2 shown]
	v_add_f16_e32 v10, v12, v61
	v_add_f16_e32 v11, v53, v52
	v_sub_f16_e32 v21, v51, v63
	v_sub_f16_e32 v25, v61, v53
	;; [unrolled: 1-line block ×3, first 2 shown]
	v_add_f16_e32 v55, v61, v64
	v_sub_f16_e32 v56, v53, v61
	v_sub_f16_e32 v58, v52, v64
	v_add_f16_e32 v60, v62, v51
	v_add_f16_e32 v65, v57, v59
	v_sub_f16_e32 v66, v61, v64
	v_sub_f16_e32 v61, v51, v57
	;; [unrolled: 1-line block ×3, first 2 shown]
	v_add_f16_e32 v69, v51, v63
	v_sub_f16_e32 v51, v57, v51
	v_sub_f16_e32 v70, v59, v63
	;; [unrolled: 1-line block ×3, first 2 shown]
	v_add_f16_e32 v10, v10, v53
	v_fma_f16 v71, -0.5, v11, v12
	v_add_f16_e32 v72, v25, v54
	v_fmac_f16_e32 v12, -0.5, v55
	v_add_f16_e32 v73, v56, v58
	v_add_f16_e32 v25, v60, v57
	v_fma_f16 v65, -0.5, v65, v62
	v_add_f16_e32 v68, v61, v68
	v_fmac_f16_e32 v62, -0.5, v69
	v_add_f16_e32 v69, v51, v70
	v_add_f16_e32 v51, v24, v13
	v_sub_f16_e32 v55, v30, v24
	v_sub_f16_e32 v57, v9, v13
	v_add_f16_e32 v58, v30, v9
	v_sub_f16_e32 v61, v24, v30
	v_sub_f16_e32 v70, v13, v9
	v_add_f16_e32 v74, v28, v27
	v_add_f16_e32 v77, v29, v26
	v_sub_f16_e32 v67, v53, v52
	v_sub_f16_e32 v11, v29, v26
	;; [unrolled: 1-line block ×5, first 2 shown]
	v_add_f16_e32 v52, v10, v52
	v_fmamk_f16 v80, v21, 0x3b9c, v71
	v_fmac_f16_e32 v71, 0xbb9c, v21
	v_fmamk_f16 v81, v22, 0xbb9c, v12
	v_fmac_f16_e32 v12, 0x3b9c, v22
	v_add_f16_e32 v82, v25, v59
	v_fmamk_f16 v83, v66, 0xbb9c, v65
	v_fma_f16 v10, -0.5, v51, v8
	v_add_f16_e32 v60, v55, v57
	v_fma_f16 v25, -0.5, v58, v8
	v_add_f16_e32 v58, v61, v70
	v_fma_f16 v55, -0.5, v74, v23
	v_fma_f16 v61, -0.5, v77, v23
	v_fmamk_f16 v84, v67, 0x3b9c, v62
	v_fmac_f16_e32 v62, 0xbb9c, v67
	v_fmac_f16_e32 v65, 0x3b9c, v66
	v_sub_f16_e32 v75, v29, v28
	v_sub_f16_e32 v76, v26, v27
	;; [unrolled: 1-line block ×4, first 2 shown]
	v_add_f16_e32 v64, v52, v64
	v_fmac_f16_e32 v80, 0x38b4, v22
	v_fmac_f16_e32 v71, 0xb8b4, v22
	;; [unrolled: 1-line block ×5, first 2 shown]
	v_fmamk_f16 v22, v11, 0xbb9c, v10
	v_fmamk_f16 v21, v54, 0x3b9c, v25
	;; [unrolled: 1-line block ×4, first 2 shown]
	v_fmac_f16_e32 v84, 0xb8b4, v66
	v_fmac_f16_e32 v62, 0x38b4, v66
	;; [unrolled: 1-line block ×3, first 2 shown]
	v_add_f16_e32 v57, v75, v76
	v_add_f16_e32 v59, v78, v79
	;; [unrolled: 1-line block ×3, first 2 shown]
	v_fmac_f16_e32 v80, 0x34f2, v72
	v_fmac_f16_e32 v83, 0x34f2, v68
	;; [unrolled: 1-line block ×12, first 2 shown]
	v_pack_b32_f16 v63, v64, v63
	v_fmac_f16_e32 v22, 0x34f2, v60
	v_fmac_f16_e32 v21, 0x34f2, v58
	v_fmac_f16_e32 v51, 0x34f2, v57
	v_pack_b32_f16 v64, v80, v83
	v_fmac_f16_e32 v52, 0x34f2, v59
	v_pack_b32_f16 v66, v81, v84
	v_pack_b32_f16 v12, v12, v62
	;; [unrolled: 1-line block ×3, first 2 shown]
	ds_write2_b32 v50, v63, v64 offset1:66
	ds_write2_b32 v50, v66, v12 offset0:132 offset1:198
	ds_write_b32 v50, v62 offset:1056
	s_and_saveexec_b32 s8, s1
	s_cbranch_execz .LBB0_15
; %bb.14:
	v_mul_f16_e32 v12, 0x3b9c, v11
	v_mul_f16_e32 v64, 0x38b4, v56
	;; [unrolled: 1-line block ×3, first 2 shown]
	v_add_f16_e32 v23, v23, v29
	v_add_f16_e32 v8, v8, v30
	v_mul_f16_e32 v62, 0x3b9c, v53
	v_mul_f16_e32 v63, 0x38b4, v54
	;; [unrolled: 1-line block ×4, first 2 shown]
	v_sub_f16_e32 v55, v55, v56
	v_add_f16_e32 v23, v23, v28
	v_add_f16_e32 v8, v8, v24
	;; [unrolled: 1-line block ×4, first 2 shown]
	v_mul_f16_e32 v11, 0x38b4, v11
	v_sub_f16_e32 v25, v25, v54
	v_mul_f16_e32 v60, 0x34f2, v60
	v_mul_f16_e32 v29, 0x34f2, v57
	v_sub_f16_e32 v12, v55, v53
	v_add_f16_e32 v23, v23, v27
	v_add_f16_e32 v8, v8, v13
	;; [unrolled: 1-line block ×3, first 2 shown]
	v_mul_f16_e32 v58, 0x34f2, v58
	v_mul_f16_e32 v59, 0x34f2, v59
	v_sub_f16_e32 v61, v61, v64
	v_add_f16_e32 v11, v11, v25
	v_add_f16_e32 v12, v29, v12
	;; [unrolled: 1-line block ×3, first 2 shown]
	v_mov_b32_e32 v23, 2
	v_add_f16_e32 v8, v8, v9
	v_add_f16_e32 v9, v60, v10
	;; [unrolled: 1-line block ×4, first 2 shown]
	v_lshlrev_b32_sdwa v11, v23, v47 dst_sel:DWORD dst_unused:UNUSED_PAD src0_sel:DWORD src1_sel:WORD_0
	v_pack_b32_f16 v8, v8, v13
	v_pack_b32_f16 v9, v9, v12
	v_perm_b32 v12, v52, v21, 0x5040100
	v_pack_b32_f16 v10, v10, v30
	v_perm_b32 v13, v51, v22, 0x5040100
	ds_write2_b32 v11, v8, v9 offset1:66
	ds_write2_b32 v11, v10, v12 offset0:132 offset1:198
	ds_write_b32 v11, v13 offset:1056
.LBB0_15:
	s_or_b32 exec_lo, exec_lo, s8
	v_mad_u64_u32 v[11:12], null, v32, 12, s[2:3]
	s_waitcnt lgkmcnt(0)
	s_barrier
	buffer_gl0_inv
	v_add_nc_u32_e32 v63, 0x400, v33
	v_add_nc_u32_e32 v64, 0xa00, v33
	;; [unrolled: 1-line block ×3, first 2 shown]
	global_load_dwordx3 v[8:10], v[11:12], off offset:1276
	v_add_co_u32 v11, s2, 0x800, v11
	v_add_co_ci_u32_e64 v12, s2, 0, v12, s2
	global_load_dwordx3 v[11:13], v[11:12], off offset:1208
	ds_read2_b32 v[26:27], v33 offset1:165
	ds_read2_b32 v[23:24], v63 offset0:74 offset1:239
	ds_read2_b32 v[28:29], v64 offset0:20 offset1:185
	;; [unrolled: 1-line block ×3, first 2 shown]
	s_waitcnt lgkmcnt(3)
	v_lshrrev_b32_e32 v25, 16, v26
	s_waitcnt lgkmcnt(2)
	v_lshrrev_b32_e32 v55, 16, v23
	;; [unrolled: 2-line block ×4, first 2 shown]
	v_lshrrev_b32_e32 v58, 16, v24
	v_lshrrev_b32_e32 v59, 16, v29
	;; [unrolled: 1-line block ×4, first 2 shown]
	s_waitcnt vmcnt(1)
	v_mul_f16_sdwa v61, v55, v8 dst_sel:DWORD dst_unused:UNUSED_PAD src0_sel:DWORD src1_sel:WORD_1
	v_mul_f16_sdwa v62, v23, v8 dst_sel:DWORD dst_unused:UNUSED_PAD src0_sel:DWORD src1_sel:WORD_1
	;; [unrolled: 1-line block ×6, first 2 shown]
	v_fma_f16 v23, v23, v8, -v61
	v_fmac_f16_e32 v62, v55, v8
	v_fma_f16 v28, v28, v9, -v66
	v_fmac_f16_e32 v67, v56, v9
	;; [unrolled: 2-line block ×3, first 2 shown]
	s_waitcnt vmcnt(0)
	v_mul_f16_sdwa v55, v58, v11 dst_sel:DWORD dst_unused:UNUSED_PAD src0_sel:DWORD src1_sel:WORD_1
	v_mul_f16_sdwa v56, v24, v11 dst_sel:DWORD dst_unused:UNUSED_PAD src0_sel:DWORD src1_sel:WORD_1
	;; [unrolled: 1-line block ×6, first 2 shown]
	v_fma_f16 v55, v24, v11, -v55
	v_fmac_f16_e32 v56, v58, v11
	v_fma_f16 v24, v29, v12, -v57
	v_fmac_f16_e32 v61, v59, v12
	v_fma_f16 v29, v54, v13, -v66
	v_sub_f16_e32 v28, v26, v28
	v_sub_f16_e32 v54, v25, v67
	;; [unrolled: 1-line block ×4, first 2 shown]
	v_fmac_f16_e32 v68, v60, v13
	v_fma_f16 v59, v26, 2.0, -v28
	v_sub_f16_e32 v61, v30, v61
	v_fma_f16 v23, v23, 2.0, -v53
	v_fma_f16 v58, v62, 2.0, -v57
	v_sub_f16_e32 v26, v28, v57
	v_add_f16_e32 v57, v54, v53
	v_sub_f16_e32 v53, v27, v24
	v_sub_f16_e32 v29, v55, v29
	;; [unrolled: 1-line block ×3, first 2 shown]
	v_fma_f16 v66, v25, 2.0, -v54
	v_sub_f16_e32 v25, v59, v23
	v_fma_f16 v60, v54, 2.0, -v57
	v_fma_f16 v54, v27, 2.0, -v53
	;; [unrolled: 1-line block ×6, first 2 shown]
	v_sub_f16_e32 v28, v53, v62
	v_add_f16_e32 v55, v61, v29
	v_sub_f16_e32 v58, v66, v58
	v_fma_f16 v23, v59, 2.0, -v25
	v_sub_f16_e32 v27, v54, v27
	v_sub_f16_e32 v59, v67, v30
	v_fma_f16 v30, v53, 2.0, -v28
	v_fma_f16 v61, v61, 2.0, -v55
	v_fma_f16 v56, v66, 2.0, -v58
	v_fma_f16 v29, v54, 2.0, -v27
	v_fma_f16 v62, v67, 2.0, -v59
	v_pack_b32_f16 v68, v26, v57
	v_pack_b32_f16 v54, v28, v55
	;; [unrolled: 1-line block ×8, first 2 shown]
	ds_write2_b32 v65, v68, v54 offset0:30 offset1:195
	ds_write2_b32 v63, v53, v69 offset0:74 offset1:239
	;; [unrolled: 1-line block ×3, first 2 shown]
	ds_write2_b32 v33, v67, v71 offset1:165
	s_waitcnt lgkmcnt(0)
	s_barrier
	buffer_gl0_inv
	s_and_saveexec_b32 s3, vcc_lo
	s_cbranch_execz .LBB0_17
; %bb.16:
	v_add_co_u32 v65, s2, s14, v31
	v_add_co_ci_u32_e64 v66, null, s15, 0, s2
	v_add_nc_u32_e32 v81, 0x400, v31
	v_add_co_u32 v53, s2, 0x1000, v65
	v_add_co_ci_u32_e64 v54, s2, 0, v66, s2
	v_add_nc_u32_e32 v82, 0x800, v31
	v_add_nc_u32_e32 v83, 0xc00, v31
	;; [unrolled: 1-line block ×3, first 2 shown]
	global_load_dword v67, v[53:54], off offset:1184
	v_add_co_u32 v53, s2, 0x14a0, v65
	v_add_co_ci_u32_e64 v54, s2, 0, v66, s2
	v_add_co_u32 v63, s2, 0x1800, v65
	v_add_co_ci_u32_e64 v64, s2, 0, v66, s2
	;; [unrolled: 2-line block ×3, first 2 shown]
	s_clause 0x9
	global_load_dword v71, v[53:54], off offset:480
	global_load_dword v72, v[53:54], off offset:960
	;; [unrolled: 1-line block ×10, first 2 shown]
	ds_read_b32 v53, v33
	s_waitcnt lgkmcnt(0)
	v_lshrrev_b32_e32 v54, 16, v53
	s_waitcnt vmcnt(10)
	v_mul_f16_sdwa v63, v54, v67 dst_sel:DWORD dst_unused:UNUSED_PAD src0_sel:DWORD src1_sel:WORD_1
	v_mul_f16_sdwa v64, v53, v67 dst_sel:DWORD dst_unused:UNUSED_PAD src0_sel:DWORD src1_sel:WORD_1
	v_fma_f16 v53, v53, v67, -v63
	v_fmac_f16_e32 v64, v54, v67
	v_pack_b32_f16 v53, v53, v64
	ds_write_b32 v33, v53
	ds_read2_b32 v[53:54], v31 offset0:120 offset1:240
	ds_read2_b32 v[63:64], v81 offset0:104 offset1:224
	ds_read2_b32 v[65:66], v82 offset0:88 offset1:208
	ds_read2_b32 v[67:68], v83 offset0:72 offset1:192
	ds_read2_b32 v[69:70], v84 offset0:56 offset1:176
	s_waitcnt lgkmcnt(4)
	v_lshrrev_b32_e32 v85, 16, v53
	s_waitcnt vmcnt(9)
	v_mul_f16_sdwa v86, v53, v71 dst_sel:DWORD dst_unused:UNUSED_PAD src0_sel:DWORD src1_sel:WORD_1
	v_lshrrev_b32_e32 v87, 16, v54
	s_waitcnt vmcnt(8)
	v_mul_f16_sdwa v88, v54, v72 dst_sel:DWORD dst_unused:UNUSED_PAD src0_sel:DWORD src1_sel:WORD_1
	s_waitcnt lgkmcnt(3)
	v_lshrrev_b32_e32 v89, 16, v63
	s_waitcnt vmcnt(7)
	v_mul_f16_sdwa v90, v63, v73 dst_sel:DWORD dst_unused:UNUSED_PAD src0_sel:DWORD src1_sel:WORD_1
	v_lshrrev_b32_e32 v91, 16, v64
	s_waitcnt vmcnt(3)
	v_mul_f16_sdwa v92, v64, v77 dst_sel:DWORD dst_unused:UNUSED_PAD src0_sel:DWORD src1_sel:WORD_1
	s_waitcnt lgkmcnt(2)
	v_lshrrev_b32_e32 v93, 16, v65
	v_mul_f16_sdwa v94, v65, v74 dst_sel:DWORD dst_unused:UNUSED_PAD src0_sel:DWORD src1_sel:WORD_1
	v_lshrrev_b32_e32 v95, 16, v66
	v_mul_f16_sdwa v96, v66, v75 dst_sel:DWORD dst_unused:UNUSED_PAD src0_sel:DWORD src1_sel:WORD_1
	s_waitcnt lgkmcnt(1)
	v_lshrrev_b32_e32 v97, 16, v67
	v_mul_f16_sdwa v98, v67, v76 dst_sel:DWORD dst_unused:UNUSED_PAD src0_sel:DWORD src1_sel:WORD_1
	v_lshrrev_b32_e32 v99, 16, v68
	s_waitcnt vmcnt(2)
	v_mul_f16_sdwa v100, v68, v78 dst_sel:DWORD dst_unused:UNUSED_PAD src0_sel:DWORD src1_sel:WORD_1
	s_waitcnt lgkmcnt(0)
	v_lshrrev_b32_e32 v101, 16, v69
	s_waitcnt vmcnt(1)
	v_mul_f16_sdwa v102, v69, v79 dst_sel:DWORD dst_unused:UNUSED_PAD src0_sel:DWORD src1_sel:WORD_1
	v_lshrrev_b32_e32 v103, 16, v70
	v_mul_f16_sdwa v105, v85, v71 dst_sel:DWORD dst_unused:UNUSED_PAD src0_sel:DWORD src1_sel:WORD_1
	v_fmac_f16_e32 v86, v85, v71
	v_mul_f16_sdwa v85, v87, v72 dst_sel:DWORD dst_unused:UNUSED_PAD src0_sel:DWORD src1_sel:WORD_1
	v_fmac_f16_e32 v88, v87, v72
	;; [unrolled: 2-line block ×7, first 2 shown]
	v_mul_f16_sdwa v97, v99, v78 dst_sel:DWORD dst_unused:UNUSED_PAD src0_sel:DWORD src1_sel:WORD_1
	s_waitcnt vmcnt(0)
	v_mul_f16_sdwa v104, v70, v80 dst_sel:DWORD dst_unused:UNUSED_PAD src0_sel:DWORD src1_sel:WORD_1
	v_fmac_f16_e32 v100, v99, v78
	v_mul_f16_sdwa v99, v101, v79 dst_sel:DWORD dst_unused:UNUSED_PAD src0_sel:DWORD src1_sel:WORD_1
	v_fmac_f16_e32 v102, v101, v79
	v_mul_f16_sdwa v101, v103, v80 dst_sel:DWORD dst_unused:UNUSED_PAD src0_sel:DWORD src1_sel:WORD_1
	v_fma_f16 v53, v53, v71, -v105
	v_fma_f16 v54, v54, v72, -v85
	;; [unrolled: 1-line block ×8, first 2 shown]
	v_fmac_f16_e32 v104, v103, v80
	v_fma_f16 v69, v69, v79, -v99
	v_fma_f16 v70, v70, v80, -v101
	v_pack_b32_f16 v53, v53, v86
	v_pack_b32_f16 v54, v54, v88
	;; [unrolled: 1-line block ×10, first 2 shown]
	ds_write2_b32 v31, v53, v54 offset0:120 offset1:240
	ds_write2_b32 v81, v63, v64 offset0:104 offset1:224
	;; [unrolled: 1-line block ×5, first 2 shown]
.LBB0_17:
	s_or_b32 exec_lo, exec_lo, s3
	s_waitcnt lgkmcnt(0)
	s_barrier
	buffer_gl0_inv
	s_and_saveexec_b32 s2, vcc_lo
	s_cbranch_execz .LBB0_19
; %bb.18:
	v_add_nc_u32_e32 v21, 0x200, v33
	v_add_nc_u32_e32 v22, 0x600, v33
	;; [unrolled: 1-line block ×3, first 2 shown]
	ds_read2_b32 v[23:24], v33 offset1:120
	ds_read2_b32 v[25:26], v21 offset0:112 offset1:232
	v_add_nc_u32_e32 v21, 0xe00, v33
	ds_read2_b32 v[29:30], v22 offset0:96 offset1:216
	ds_read2_b32 v[27:28], v27 offset0:80 offset1:200
	;; [unrolled: 1-line block ×3, first 2 shown]
	ds_read_b32 v35, v33 offset:4800
	s_waitcnt lgkmcnt(5)
	v_lshrrev_b32_e32 v56, 16, v23
	v_lshrrev_b32_e32 v60, 16, v24
	s_waitcnt lgkmcnt(4)
	v_lshrrev_b32_e32 v58, 16, v25
	v_lshrrev_b32_e32 v57, 16, v26
	;; [unrolled: 3-line block ×5, first 2 shown]
	s_waitcnt lgkmcnt(0)
	v_lshrrev_b32_e32 v36, 16, v35
.LBB0_19:
	s_or_b32 exec_lo, exec_lo, s2
	v_sub_f16_e32 v73, v60, v36
	v_add_f16_e32 v78, v36, v60
	v_add_f16_e32 v65, v35, v24
	v_sub_f16_e32 v67, v24, v35
	v_add_f16_e32 v80, v51, v58
	v_mul_f16_e32 v82, 0xbb47, v73
	v_sub_f16_e32 v74, v58, v51
	v_mul_f16_e32 v87, 0x36a6, v78
	v_add_f16_e32 v66, v22, v25
	v_mul_f16_e32 v91, 0xbbeb, v73
	v_fma_f16 v53, v65, 0x36a6, -v82
	v_mul_f16_e32 v95, 0xb08e, v78
	v_mul_f16_e32 v83, 0xba0c, v74
	v_fmamk_f16 v54, v67, 0xbb47, v87
	v_sub_f16_e32 v68, v25, v22
	v_mul_f16_e32 v86, 0xb93d, v80
	v_add_f16_e32 v84, v52, v57
	v_fma_f16 v63, v65, 0xb08e, -v91
	v_add_f16_e32 v53, v23, v53
	v_fmamk_f16 v64, v67, 0xbbeb, v95
	v_fma_f16 v69, v66, 0xb93d, -v83
	v_add_f16_e32 v54, v56, v54
	v_fmamk_f16 v71, v68, 0xba0c, v86
	v_sub_f16_e32 v77, v57, v52
	v_mul_f16_e32 v96, 0x3482, v74
	v_mul_f16_e32 v99, 0xbbad, v80
	v_sub_f16_e32 v70, v26, v21
	v_mul_f16_e32 v90, 0xbbad, v84
	v_add_f16_e32 v63, v23, v63
	v_add_f16_e32 v64, v56, v64
	;; [unrolled: 1-line block ×4, first 2 shown]
	v_mul_f16_e32 v89, 0x3482, v77
	v_fma_f16 v72, v66, 0xbbad, -v96
	v_fmamk_f16 v75, v68, 0x3482, v99
	v_add_f16_e32 v54, v71, v54
	v_fmamk_f16 v71, v70, 0x3482, v90
	v_mul_f16_e32 v98, 0x3b47, v77
	v_sub_f16_e32 v79, v62, v55
	v_fma_f16 v76, v69, 0xbbad, -v89
	v_add_f16_e32 v63, v72, v63
	v_add_f16_e32 v64, v75, v64
	;; [unrolled: 1-line block ×4, first 2 shown]
	v_fma_f16 v75, v69, 0x36a6, -v98
	v_add_f16_e32 v71, v28, v29
	v_mul_f16_e32 v92, 0x3beb, v79
	v_mul_f16_e32 v100, 0xb853, v79
	v_add_f16_e32 v53, v76, v53
	v_mul_f16_e32 v101, 0x36a6, v84
	v_sub_f16_e32 v72, v29, v28
	v_mul_f16_e32 v93, 0xb08e, v88
	v_fma_f16 v81, v71, 0xb08e, -v92
	v_add_f16_e32 v63, v75, v63
	v_fma_f16 v85, v71, 0x3abb, -v100
	v_fmamk_f16 v76, v70, 0x3b47, v101
	v_fmamk_f16 v75, v72, 0x3beb, v93
	v_add_f16_e32 v53, v81, v53
	v_mul_f16_e32 v103, 0x3abb, v88
	v_add_f16_e32 v63, v85, v63
	v_sub_f16_e32 v81, v61, v59
	v_add_f16_e32 v85, v59, v61
	v_add_f16_e32 v64, v76, v64
	v_add_f16_e32 v54, v75, v54
	v_fmamk_f16 v105, v72, 0xb853, v103
	v_add_f16_e32 v75, v27, v30
	v_sub_f16_e32 v76, v30, v27
	v_mul_f16_e32 v94, 0x3853, v81
	v_mul_f16_e32 v97, 0x3abb, v85
	;; [unrolled: 1-line block ×4, first 2 shown]
	v_add_f16_e32 v64, v105, v64
	v_fma_f16 v105, v75, 0x3abb, -v94
	v_fmamk_f16 v106, v76, 0x3853, v97
	v_fma_f16 v107, v75, 0xb93d, -v102
	v_fmamk_f16 v108, v76, 0xba0c, v104
	v_add_f16_e32 v53, v105, v53
	v_add_f16_e32 v54, v106, v54
	;; [unrolled: 1-line block ×4, first 2 shown]
	s_barrier
	buffer_gl0_inv
	s_and_saveexec_b32 s2, vcc_lo
	s_cbranch_execz .LBB0_21
; %bb.20:
	v_mul_f16_e32 v109, 0xba0c, v67
	v_mul_f16_e32 v115, 0x3beb, v68
	v_mul_f16_e32 v120, 0xb853, v70
	v_mul_f16_e32 v124, 0xb482, v72
	v_mul_f16_e32 v107, 0xb08e, v65
	v_fmamk_f16 v114, v78, 0xb93d, v109
	v_fmamk_f16 v119, v80, 0xb08e, v115
	v_mul_f16_e32 v106, 0xbb47, v67
	v_mul_f16_e32 v112, 0xbbad, v66
	;; [unrolled: 1-line block ×3, first 2 shown]
	v_add_f16_e32 v114, v56, v114
	v_mul_f16_e32 v131, 0x3b47, v76
	v_mul_f16_e32 v134, 0x3853, v68
	v_add_f16_e32 v91, v107, v91
	v_mul_f16_e32 v105, 0x36a6, v65
	v_add_f16_e32 v114, v119, v114
	v_fmamk_f16 v119, v84, 0x3abb, v120
	v_mul_f16_e32 v111, 0xba0c, v68
	v_mul_f16_e32 v118, 0x36a6, v69
	v_fma_f16 v126, v65, 0xb93d, -v123
	v_mul_f16_e32 v127, 0x3beb, v74
	v_add_f16_e32 v114, v119, v114
	v_fmamk_f16 v119, v88, 0xbbad, v124
	v_fmamk_f16 v135, v85, 0x36a6, v131
	v_fmamk_f16 v136, v80, 0x3abb, v134
	v_mul_f16_e32 v137, 0xba0c, v70
	v_fma_f16 v134, v80, 0x3abb, -v134
	v_add_f16_e32 v114, v119, v114
	v_mul_f16_e32 v119, 0xb482, v67
	v_add_f16_e32 v91, v23, v91
	v_add_f16_e32 v96, v112, v96
	v_sub_f16_e32 v87, v87, v106
	v_mul_f16_e32 v110, 0xb93d, v66
	v_fmamk_f16 v133, v78, 0xbbad, v119
	v_fma_f16 v119, v78, 0xbbad, -v119
	v_mul_f16_e32 v117, 0x3482, v70
	v_mul_f16_e32 v128, 0x3abb, v71
	v_add_f16_e32 v126, v23, v126
	v_fma_f16 v129, v66, 0xb08e, -v127
	v_add_f16_e32 v119, v56, v119
	v_mul_f16_e32 v130, 0xb853, v77
	v_add_f16_e32 v114, v135, v114
	v_fmamk_f16 v135, v84, 0xb93d, v137
	v_fma_f16 v137, v84, 0xb93d, -v137
	v_add_f16_e32 v119, v134, v119
	v_add_f16_e32 v91, v96, v91
	;; [unrolled: 1-line block ×5, first 2 shown]
	v_sub_f16_e32 v86, v86, v111
	v_add_f16_e32 v24, v24, v23
	v_mul_f16_e32 v116, 0xbbad, v69
	v_add_f16_e32 v126, v129, v126
	v_fma_f16 v129, v69, 0x3abb, -v130
	v_mul_f16_e32 v132, 0xb482, v79
	v_add_f16_e32 v119, v137, v119
	v_mul_f16_e32 v137, 0xb93d, v75
	v_fma_f16 v109, v78, 0xb93d, -v109
	v_add_f16_e32 v91, v96, v91
	v_add_f16_e32 v96, v128, v100
	v_add_f16_e32 v82, v23, v82
	v_add_f16_e32 v83, v110, v83
	v_add_f16_e32 v86, v86, v87
	v_sub_f16_e32 v87, v90, v117
	v_mul_f16_e32 v78, 0x3abb, v78
	v_add_f16_e32 v24, v25, v24
	v_add_f16_e32 v25, v60, v56
	v_mul_f16_e32 v122, 0xb08e, v71
	v_add_f16_e32 v126, v129, v126
	v_fma_f16 v129, v71, 0xbbad, -v132
	v_add_f16_e32 v109, v56, v109
	v_fma_f16 v115, v80, 0xb08e, -v115
	v_add_f16_e32 v91, v96, v91
	v_add_f16_e32 v96, v137, v102
	;; [unrolled: 1-line block ×5, first 2 shown]
	v_fmamk_f16 v87, v67, 0x3853, v78
	v_mul_f16_e32 v80, 0x36a6, v80
	v_add_f16_e32 v24, v26, v24
	v_add_f16_e32 v25, v58, v25
	;; [unrolled: 1-line block ×4, first 2 shown]
	v_mul_f16_e32 v129, 0xb482, v73
	v_add_f16_e32 v109, v115, v109
	v_fma_f16 v115, v84, 0x3abb, -v120
	v_add_f16_e32 v90, v96, v91
	v_add_f16_e32 v82, v83, v82
	;; [unrolled: 1-line block ×4, first 2 shown]
	v_fmamk_f16 v91, v68, 0x3b47, v80
	v_mul_f16_e32 v84, 0xb08e, v84
	v_add_f16_e32 v24, v29, v24
	v_add_f16_e32 v25, v57, v25
	;; [unrolled: 1-line block ×3, first 2 shown]
	v_mul_f16_e32 v136, 0x3b47, v72
	v_fma_f16 v139, v65, 0xbbad, -v129
	v_mul_f16_e32 v140, 0x3853, v74
	v_add_f16_e32 v82, v83, v82
	v_add_f16_e32 v83, v91, v87
	v_fmamk_f16 v87, v70, 0x3beb, v84
	v_mul_f16_e32 v73, 0xb853, v73
	v_add_f16_e32 v24, v30, v24
	v_add_f16_e32 v25, v62, v25
	v_mul_f16_e32 v108, 0xbbeb, v67
	v_add_f16_e32 v133, v135, v133
	v_fmamk_f16 v135, v88, 0x36a6, v136
	v_mul_f16_e32 v141, 0xbbeb, v76
	v_add_f16_e32 v139, v23, v139
	v_fma_f16 v142, v66, 0x3abb, -v140
	v_mul_f16_e32 v143, 0xba0c, v77
	v_add_f16_e32 v83, v87, v83
	v_fmamk_f16 v87, v65, 0x3abb, v73
	v_mul_f16_e32 v74, 0xbb47, v74
	v_add_f16_e32 v24, v27, v24
	v_add_f16_e32 v25, v61, v25
	v_mul_f16_e32 v113, 0x3482, v68
	v_mul_f16_e32 v138, 0x3b47, v81
	v_add_f16_e32 v133, v135, v133
	v_fmamk_f16 v135, v85, 0xb08e, v141
	v_add_f16_e32 v139, v142, v139
	v_fma_f16 v142, v69, 0xb93d, -v143
	v_mul_f16_e32 v145, 0x3b47, v79
	v_sub_f16_e32 v95, v95, v108
	v_add_f16_e32 v60, v23, v87
	v_fmamk_f16 v87, v66, 0x36a6, v74
	v_mul_f16_e32 v77, 0xbbeb, v77
	v_add_f16_e32 v24, v28, v24
	v_add_f16_e32 v25, v59, v25
	v_fmac_f16_e32 v129, 0xbbad, v65
	v_fmac_f16_e32 v123, 0xb93d, v65
	;; [unrolled: 1-line block ×3, first 2 shown]
	v_fma_f16 v28, v65, 0x3abb, -v73
	v_mul_f16_e32 v121, 0x3b47, v70
	v_fma_f16 v144, v75, 0x36a6, -v138
	v_add_f16_e32 v133, v135, v133
	v_add_f16_e32 v135, v142, v139
	v_fma_f16 v139, v71, 0x36a6, -v145
	v_mul_f16_e32 v142, 0xbbeb, v81
	v_fma_f16 v136, v88, 0x36a6, -v136
	v_add_f16_e32 v109, v115, v109
	v_fma_f16 v115, v88, 0xbbad, -v124
	v_add_f16_e32 v95, v56, v95
	v_sub_f16_e32 v99, v99, v113
	v_mul_f16_e32 v88, 0xb93d, v88
	v_add_f16_e32 v58, v87, v60
	v_fmamk_f16 v60, v69, 0xb08e, v77
	v_mul_f16_e32 v29, 0xba0c, v79
	v_add_f16_e32 v21, v21, v24
	v_add_f16_e32 v24, v55, v25
	;; [unrolled: 1-line block ×3, first 2 shown]
	v_fmac_f16_e32 v140, 0x3abb, v66
	v_add_f16_e32 v108, v23, v123
	v_fmac_f16_e32 v127, 0xb08e, v66
	v_add_f16_e32 v25, v56, v78
	;; [unrolled: 2-line block ×3, first 2 shown]
	v_fma_f16 v28, v66, 0x36a6, -v74
	v_mul_f16_e32 v125, 0x3beb, v72
	v_add_f16_e32 v126, v144, v126
	v_mul_f16_e32 v144, 0xb853, v72
	v_add_f16_e32 v135, v139, v135
	v_fma_f16 v139, v75, 0xb08e, -v142
	v_add_f16_e32 v95, v99, v95
	v_sub_f16_e32 v99, v101, v121
	v_fmamk_f16 v92, v72, 0x3a0c, v88
	v_mul_f16_e32 v57, 0xbbad, v85
	v_add_f16_e32 v58, v60, v58
	v_fmamk_f16 v30, v71, 0xb93d, v29
	v_mul_f16_e32 v60, 0xb482, v81
	v_add_f16_e32 v21, v22, v21
	v_add_f16_e32 v22, v52, v24
	;; [unrolled: 1-line block ×3, first 2 shown]
	v_fmac_f16_e32 v143, 0xb93d, v69
	v_add_f16_e32 v108, v127, v108
	v_fmac_f16_e32 v130, 0x3abb, v69
	v_add_f16_e32 v24, v80, v25
	;; [unrolled: 2-line block ×3, first 2 shown]
	v_fma_f16 v25, v69, 0xb08e, -v77
	v_mul_f16_e32 v134, 0x3abb, v75
	v_add_f16_e32 v135, v139, v135
	v_mul_f16_e32 v139, 0x3853, v76
	v_mul_f16_e32 v140, 0xba0c, v76
	v_add_f16_e32 v95, v99, v95
	v_sub_f16_e32 v99, v103, v144
	v_sub_f16_e32 v89, v93, v125
	v_add_f16_e32 v26, v92, v83
	v_fmamk_f16 v62, v76, 0x3482, v57
	v_add_f16_e32 v27, v30, v58
	v_fmamk_f16 v30, v75, 0xbbad, v60
	v_add_f16_e32 v22, v51, v22
	v_add_f16_e32 v129, v143, v129
	v_fmac_f16_e32 v145, 0x36a6, v71
	v_add_f16_e32 v101, v130, v108
	v_fmac_f16_e32 v132, 0xbbad, v71
	;; [unrolled: 2-line block ×3, first 2 shown]
	v_add_f16_e32 v23, v25, v23
	v_fma_f16 v25, v71, 0xb93d, -v29
	v_add_f16_e32 v95, v99, v95
	v_sub_f16_e32 v98, v104, v140
	v_add_f16_e32 v86, v89, v86
	v_sub_f16_e32 v89, v97, v139
	v_add_f16_e32 v91, v134, v94
	v_add_f16_e32 v26, v62, v26
	;; [unrolled: 1-line block ×5, first 2 shown]
	v_mov_b32_e32 v28, 2
	v_add_f16_e32 v119, v136, v119
	v_fma_f16 v136, v85, 0xb08e, -v141
	v_add_f16_e32 v120, v145, v129
	v_fmac_f16_e32 v142, 0xb08e, v75
	v_add_f16_e32 v109, v115, v109
	v_fma_f16 v115, v85, 0x36a6, -v131
	v_add_f16_e32 v101, v132, v101
	v_fmac_f16_e32 v138, 0x36a6, v75
	v_add_f16_e32 v24, v88, v24
	v_fmac_f16_e32 v57, 0xb482, v76
	v_add_f16_e32 v23, v25, v23
	v_fma_f16 v25, v75, 0xbbad, -v60
	v_add_f16_e32 v95, v98, v95
	v_lshlrev_b32_sdwa v28, v28, v34 dst_sel:DWORD dst_unused:UNUSED_PAD src0_sel:DWORD src1_sel:WORD_0
	v_pack_b32_f16 v26, v27, v26
	v_pack_b32_f16 v21, v21, v22
	v_add_f16_e32 v22, v89, v86
	v_add_f16_e32 v27, v91, v82
	;; [unrolled: 1-line block ×8, first 2 shown]
	ds_write2_b32 v28, v21, v26 offset1:1
	v_pack_b32_f16 v21, v90, v95
	v_pack_b32_f16 v22, v27, v22
	;; [unrolled: 1-line block ×6, first 2 shown]
	v_perm_b32 v30, v54, v53, 0x5040100
	v_perm_b32 v34, v64, v63, 0x5040100
	v_pack_b32_f16 v23, v23, v24
	ds_write2_b32 v28, v22, v21 offset0:2 offset1:3
	ds_write2_b32 v28, v26, v25 offset0:4 offset1:5
	;; [unrolled: 1-line block ×4, first 2 shown]
	ds_write_b32 v28, v23 offset:40
.LBB0_21:
	s_or_b32 exec_lo, exec_lo, s2
	v_add_nc_u32_e32 v23, 0xa00, v33
	v_add_nc_u32_e32 v25, 0x400, v33
	;; [unrolled: 1-line block ×3, first 2 shown]
	s_waitcnt lgkmcnt(0)
	s_barrier
	buffer_gl0_inv
	ds_read2_b32 v[21:22], v33 offset1:165
	ds_read2_b32 v[23:24], v23 offset0:20 offset1:185
	ds_read2_b32 v[25:26], v25 offset0:74 offset1:239
	;; [unrolled: 1-line block ×3, first 2 shown]
	s_waitcnt lgkmcnt(0)
	s_barrier
	buffer_gl0_inv
	v_lshrrev_b32_e32 v30, 16, v23
	v_lshrrev_b32_e32 v35, 16, v24
	v_mul_f16_sdwa v56, v39, v23 dst_sel:DWORD dst_unused:UNUSED_PAD src0_sel:WORD_1 src1_sel:DWORD
	v_lshrrev_b32_e32 v51, 16, v27
	v_mul_f16_sdwa v57, v40, v24 dst_sel:DWORD dst_unused:UNUSED_PAD src0_sel:WORD_1 src1_sel:DWORD
	;; [unrolled: 2-line block ×3, first 2 shown]
	v_mul_f16_sdwa v60, v39, v30 dst_sel:DWORD dst_unused:UNUSED_PAD src0_sel:WORD_1 src1_sel:DWORD
	v_fma_f16 v30, v39, v30, -v56
	v_mul_f16_sdwa v56, v40, v35 dst_sel:DWORD dst_unused:UNUSED_PAD src0_sel:WORD_1 src1_sel:DWORD
	v_fma_f16 v35, v40, v35, -v57
	v_mul_f16_sdwa v57, v41, v51 dst_sel:DWORD dst_unused:UNUSED_PAD src0_sel:WORD_1 src1_sel:DWORD
	v_lshrrev_b32_e32 v34, 16, v22
	v_mul_f16_sdwa v59, v42, v28 dst_sel:DWORD dst_unused:UNUSED_PAD src0_sel:WORD_1 src1_sel:DWORD
	v_fma_f16 v51, v41, v51, -v58
	v_mul_f16_sdwa v58, v42, v55 dst_sel:DWORD dst_unused:UNUSED_PAD src0_sel:WORD_1 src1_sel:DWORD
	v_lshrrev_b32_e32 v29, 16, v21
	v_fmac_f16_e32 v60, v39, v23
	v_fmac_f16_e32 v56, v40, v24
	v_lshrrev_b32_e32 v36, 16, v25
	v_fmac_f16_e32 v57, v41, v27
	v_lshrrev_b32_e32 v52, 16, v26
	v_fma_f16 v55, v42, v55, -v59
	v_fmac_f16_e32 v58, v42, v28
	v_sub_f16_e32 v24, v34, v35
	v_sub_f16_e32 v23, v29, v30
	;; [unrolled: 1-line block ×7, first 2 shown]
	v_fma_f16 v42, v34, 2.0, -v24
	v_sub_f16_e32 v34, v26, v58
	v_fma_f16 v29, v29, 2.0, -v23
	v_fma_f16 v21, v21, 2.0, -v39
	;; [unrolled: 1-line block ×7, first 2 shown]
	v_pack_b32_f16 v21, v21, v29
	v_pack_b32_f16 v23, v39, v23
	;; [unrolled: 1-line block ×8, first 2 shown]
	ds_write2_b32 v46, v21, v23 offset1:11
	ds_write2_b32 v43, v22, v24 offset1:11
	;; [unrolled: 1-line block ×4, first 2 shown]
	v_add_nc_u32_e32 v23, 0x600, v33
	v_add_nc_u32_e32 v24, 0xd00, v33
	s_waitcnt lgkmcnt(0)
	s_barrier
	buffer_gl0_inv
	ds_read2_b32 v[21:22], v33 offset1:165
	ds_read2_b32 v[25:26], v23 offset0:56 offset1:221
	ds_read2_b32 v[23:24], v24 offset0:48 offset1:213
	s_and_saveexec_b32 s2, s0
	s_cbranch_execz .LBB0_23
; %bb.22:
	ds_read_b32 v27, v33 offset:1320
	ds_read_b32 v34, v33 offset:3080
	ds_read_b32 v63, v33 offset:4840
	s_waitcnt lgkmcnt(2)
	v_lshrrev_b32_e32 v28, 16, v27
	s_waitcnt lgkmcnt(1)
	v_lshrrev_b32_e32 v30, 16, v34
	;; [unrolled: 2-line block ×3, first 2 shown]
.LBB0_23:
	s_or_b32 exec_lo, exec_lo, s2
	s_waitcnt lgkmcnt(1)
	v_lshrrev_b32_e32 v35, 16, v25
	s_waitcnt lgkmcnt(0)
	v_lshrrev_b32_e32 v39, 16, v23
	v_lshrrev_b32_e32 v40, 16, v26
	v_mul_f16_sdwa v42, v19, v25 dst_sel:DWORD dst_unused:UNUSED_PAD src0_sel:WORD_1 src1_sel:DWORD
	v_lshrrev_b32_e32 v43, 16, v24
	v_mul_f16_sdwa v41, v19, v35 dst_sel:DWORD dst_unused:UNUSED_PAD src0_sel:WORD_1 src1_sel:DWORD
	v_mul_f16_sdwa v44, v20, v39 dst_sel:DWORD dst_unused:UNUSED_PAD src0_sel:WORD_1 src1_sel:DWORD
	;; [unrolled: 1-line block ×3, first 2 shown]
	v_lshrrev_b32_e32 v36, 16, v21
	v_lshrrev_b32_e32 v29, 16, v22
	v_fmac_f16_e32 v41, v19, v25
	v_mul_f16_sdwa v25, v17, v40 dst_sel:DWORD dst_unused:UNUSED_PAD src0_sel:WORD_1 src1_sel:DWORD
	v_fmac_f16_e32 v44, v20, v23
	v_mul_f16_sdwa v23, v17, v26 dst_sel:DWORD dst_unused:UNUSED_PAD src0_sel:WORD_1 src1_sel:DWORD
	v_fma_f16 v19, v19, v35, -v42
	v_mul_f16_sdwa v35, v18, v43 dst_sel:DWORD dst_unused:UNUSED_PAD src0_sel:WORD_1 src1_sel:DWORD
	v_fmac_f16_e32 v25, v17, v26
	v_mul_f16_sdwa v26, v18, v24 dst_sel:DWORD dst_unused:UNUSED_PAD src0_sel:WORD_1 src1_sel:DWORD
	v_fma_f16 v17, v17, v40, -v23
	v_mul_f16_sdwa v23, v15, v30 dst_sel:DWORD dst_unused:UNUSED_PAD src0_sel:WORD_1 src1_sel:DWORD
	v_fma_f16 v20, v20, v39, -v45
	v_fmac_f16_e32 v35, v18, v24
	v_mul_f16_sdwa v24, v15, v34 dst_sel:DWORD dst_unused:UNUSED_PAD src0_sel:WORD_1 src1_sel:DWORD
	v_fma_f16 v18, v18, v43, -v26
	v_mul_f16_sdwa v26, v16, v64 dst_sel:DWORD dst_unused:UNUSED_PAD src0_sel:WORD_1 src1_sel:DWORD
	v_fmac_f16_e32 v23, v15, v34
	v_mul_f16_sdwa v34, v16, v63 dst_sel:DWORD dst_unused:UNUSED_PAD src0_sel:WORD_1 src1_sel:DWORD
	v_fma_f16 v15, v15, v30, -v24
	v_add_f16_e32 v24, v41, v44
	v_fmac_f16_e32 v26, v16, v63
	v_add_f16_e32 v30, v21, v41
	v_fma_f16 v34, v16, v64, -v34
	v_add_f16_e32 v16, v19, v20
	v_fma_f16 v21, -0.5, v24, v21
	v_sub_f16_e32 v24, v19, v20
	v_add_f16_e32 v19, v36, v19
	v_add_f16_e32 v40, v22, v25
	v_fmac_f16_e32 v36, -0.5, v16
	v_sub_f16_e32 v16, v41, v44
	v_fmamk_f16 v39, v24, 0xbaee, v21
	v_fmac_f16_e32 v21, 0x3aee, v24
	v_add_f16_e32 v19, v19, v20
	v_add_f16_e32 v20, v25, v35
	v_fmamk_f16 v24, v16, 0x3aee, v36
	v_fmac_f16_e32 v36, 0xbaee, v16
	v_add_f16_e32 v16, v17, v18
	v_add_f16_e32 v40, v40, v35
	v_fmac_f16_e32 v22, -0.5, v20
	v_sub_f16_e32 v20, v17, v18
	v_add_f16_e32 v17, v29, v17
	v_fmac_f16_e32 v29, -0.5, v16
	v_sub_f16_e32 v16, v25, v35
	v_add_f16_e32 v30, v30, v44
	v_fmamk_f16 v25, v20, 0xbaee, v22
	v_fmac_f16_e32 v22, 0x3aee, v20
	v_add_f16_e32 v20, v17, v18
	v_add_f16_e32 v17, v26, v23
	v_fmamk_f16 v35, v16, 0x3aee, v29
	v_fmac_f16_e32 v29, 0xbaee, v16
	v_add_f16_e32 v16, v34, v15
	v_add_f16_e32 v18, v27, v23
	v_fmac_f16_e32 v27, -0.5, v17
	v_sub_f16_e32 v17, v15, v34
	v_add_f16_e32 v41, v15, v28
	v_fmac_f16_e32 v28, -0.5, v16
	v_sub_f16_e32 v23, v23, v26
	v_add_f16_e32 v15, v26, v18
	v_fmamk_f16 v16, v17, 0xbaee, v27
	v_fmac_f16_e32 v27, 0x3aee, v17
	v_add_f16_e32 v17, v34, v41
	v_fmamk_f16 v18, v23, 0x3aee, v28
	v_fmac_f16_e32 v28, 0xbaee, v23
	v_pack_b32_f16 v19, v30, v19
	v_pack_b32_f16 v23, v39, v24
	;; [unrolled: 1-line block ×6, first 2 shown]
	s_barrier
	buffer_gl0_inv
	ds_write2_b32 v49, v19, v23 offset1:22
	ds_write_b32 v49, v21 offset:176
	ds_write2_b32 v48, v20, v24 offset1:22
	ds_write_b32 v48, v25 offset:176
	s_and_saveexec_b32 s2, s0
	s_cbranch_execz .LBB0_25
; %bb.24:
	v_mad_u16 v19, 0x42, v37, v38
	v_mov_b32_e32 v20, 2
	v_perm_b32 v21, v17, v15, 0x5040100
	v_perm_b32 v23, v18, v16, 0x5040100
	v_lshlrev_b32_sdwa v19, v20, v19 dst_sel:DWORD dst_unused:UNUSED_PAD src0_sel:DWORD src1_sel:WORD_0
	v_perm_b32 v20, v28, v27, 0x5040100
	ds_write2_b32 v19, v21, v23 offset1:22
	ds_write_b32 v19, v20 offset:176
.LBB0_25:
	s_or_b32 exec_lo, exec_lo, s2
	s_waitcnt lgkmcnt(0)
	s_barrier
	buffer_gl0_inv
	ds_read_b32 v19, v33
	ds_read_b32 v21, v33 offset:1056
	ds_read_b32 v24, v33 offset:2112
	;; [unrolled: 1-line block ×4, first 2 shown]
	s_and_saveexec_b32 s0, s1
	s_cbranch_execz .LBB0_27
; %bb.26:
	ds_read_b32 v22, v33 offset:660
	ds_read_b32 v15, v33 offset:1716
	;; [unrolled: 1-line block ×5, first 2 shown]
	s_waitcnt lgkmcnt(4)
	v_lshrrev_b32_e32 v29, 16, v22
	s_waitcnt lgkmcnt(3)
	v_lshrrev_b32_e32 v17, 16, v15
	s_waitcnt lgkmcnt(2)
	v_lshrrev_b32_e32 v18, 16, v16
	s_waitcnt lgkmcnt(1)
	v_lshrrev_b32_e32 v28, 16, v27
	s_waitcnt lgkmcnt(0)
	v_lshrrev_b32_e32 v54, 16, v53
.LBB0_27:
	s_or_b32 exec_lo, exec_lo, s0
	s_waitcnt lgkmcnt(2)
	v_lshrrev_b32_e32 v25, 16, v24
	s_waitcnt lgkmcnt(1)
	v_lshrrev_b32_e32 v26, 16, v23
	v_lshrrev_b32_e32 v30, 16, v21
	s_waitcnt lgkmcnt(0)
	v_lshrrev_b32_e32 v34, 16, v20
	v_mul_f16_sdwa v37, v4, v21 dst_sel:DWORD dst_unused:UNUSED_PAD src0_sel:WORD_1 src1_sel:DWORD
	v_mul_f16_sdwa v35, v5, v25 dst_sel:DWORD dst_unused:UNUSED_PAD src0_sel:WORD_1 src1_sel:DWORD
	;; [unrolled: 1-line block ×5, first 2 shown]
	v_fma_f16 v30, v4, v30, -v37
	v_fmac_f16_e32 v35, v5, v24
	v_fmac_f16_e32 v36, v6, v23
	v_mul_f16_sdwa v24, v7, v20 dst_sel:DWORD dst_unused:UNUSED_PAD src0_sel:WORD_1 src1_sel:DWORD
	v_mul_f16_sdwa v23, v6, v23 dst_sel:DWORD dst_unused:UNUSED_PAD src0_sel:WORD_1 src1_sel:DWORD
	v_fmac_f16_e32 v39, v4, v21
	v_fma_f16 v5, v5, v25, -v38
	v_add_f16_e32 v4, v35, v36
	v_fma_f16 v21, v7, v34, -v24
	v_mul_f16_sdwa v24, v7, v34 dst_sel:DWORD dst_unused:UNUSED_PAD src0_sel:WORD_1 src1_sel:DWORD
	v_add_f16_e32 v25, v19, v39
	v_fma_f16 v6, v6, v26, -v23
	v_fma_f16 v4, -0.5, v4, v19
	v_sub_f16_e32 v34, v30, v21
	v_fmac_f16_e32 v24, v7, v20
	v_add_f16_e32 v7, v25, v35
	v_sub_f16_e32 v25, v5, v6
	v_sub_f16_e32 v26, v39, v35
	v_fmamk_f16 v20, v34, 0xbb9c, v4
	v_sub_f16_e32 v37, v24, v36
	v_fmac_f16_e32 v4, 0x3b9c, v34
	v_add_f16_e32 v38, v39, v24
	v_lshrrev_b32_e32 v23, 16, v19
	v_fmac_f16_e32 v20, 0xb8b4, v25
	v_add_f16_e32 v26, v26, v37
	v_fmac_f16_e32 v4, 0x38b4, v25
	v_fmac_f16_e32 v19, -0.5, v38
	v_add_f16_e32 v7, v7, v36
	v_add_f16_e32 v37, v5, v6
	v_fmac_f16_e32 v20, 0x34f2, v26
	v_fmac_f16_e32 v4, 0x34f2, v26
	v_fmamk_f16 v26, v25, 0x3b9c, v19
	v_sub_f16_e32 v38, v35, v39
	v_sub_f16_e32 v40, v36, v24
	v_fmac_f16_e32 v19, 0xbb9c, v25
	v_add_f16_e32 v7, v7, v24
	v_add_f16_e32 v25, v23, v30
	v_sub_f16_e32 v24, v39, v24
	v_add_f16_e32 v39, v30, v21
	v_fma_f16 v37, -0.5, v37, v23
	v_fmac_f16_e32 v26, 0xb8b4, v34
	v_add_f16_e32 v38, v38, v40
	v_fmac_f16_e32 v19, 0x38b4, v34
	v_add_f16_e32 v25, v25, v5
	v_sub_f16_e32 v35, v35, v36
	v_fmac_f16_e32 v23, -0.5, v39
	v_fmamk_f16 v34, v24, 0x3b9c, v37
	v_fmac_f16_e32 v26, 0x34f2, v38
	v_fmac_f16_e32 v19, 0x34f2, v38
	v_sub_f16_e32 v36, v30, v5
	v_sub_f16_e32 v38, v21, v6
	v_add_f16_e32 v25, v25, v6
	v_fmamk_f16 v39, v35, 0xbb9c, v23
	v_sub_f16_e32 v5, v5, v30
	v_sub_f16_e32 v6, v6, v21
	v_fmac_f16_e32 v23, 0x3b9c, v35
	v_fmac_f16_e32 v37, 0xbb9c, v24
	;; [unrolled: 1-line block ×3, first 2 shown]
	v_add_f16_e32 v30, v36, v38
	v_fmac_f16_e32 v39, 0x38b4, v24
	v_add_f16_e32 v5, v5, v6
	v_fmac_f16_e32 v23, 0xb8b4, v24
	v_fmac_f16_e32 v37, 0xb8b4, v35
	v_add_f16_e32 v6, v25, v21
	v_fmac_f16_e32 v34, 0x34f2, v30
	v_fmac_f16_e32 v39, 0x34f2, v5
	;; [unrolled: 1-line block ×4, first 2 shown]
	v_pack_b32_f16 v5, v7, v6
	v_pack_b32_f16 v6, v20, v34
	;; [unrolled: 1-line block ×5, first 2 shown]
	s_barrier
	buffer_gl0_inv
	ds_write2_b32 v50, v5, v6 offset1:66
	ds_write2_b32 v50, v7, v19 offset0:132 offset1:198
	ds_write_b32 v50, v4 offset:1056
	s_and_saveexec_b32 s0, s1
	s_cbranch_execz .LBB0_29
; %bb.28:
	v_mul_f16_sdwa v4, v1, v16 dst_sel:DWORD dst_unused:UNUSED_PAD src0_sel:WORD_1 src1_sel:DWORD
	v_mul_f16_sdwa v5, v0, v15 dst_sel:DWORD dst_unused:UNUSED_PAD src0_sel:WORD_1 src1_sel:DWORD
	;; [unrolled: 1-line block ×5, first 2 shown]
	v_fma_f16 v4, v1, v18, -v4
	v_fma_f16 v5, v0, v17, -v5
	v_mul_f16_sdwa v18, v1, v18 dst_sel:DWORD dst_unused:UNUSED_PAD src0_sel:WORD_1 src1_sel:DWORD
	v_mul_f16_sdwa v17, v0, v17 dst_sel:DWORD dst_unused:UNUSED_PAD src0_sel:WORD_1 src1_sel:DWORD
	;; [unrolled: 1-line block ×3, first 2 shown]
	v_fma_f16 v6, v3, v54, -v6
	v_fmac_f16_e32 v19, v2, v27
	v_fmac_f16_e32 v18, v1, v16
	v_fma_f16 v1, v2, v28, -v7
	v_fmac_f16_e32 v17, v0, v15
	v_fmac_f16_e32 v20, v3, v53
	v_add_f16_e32 v21, v6, v5
	v_sub_f16_e32 v3, v4, v5
	v_sub_f16_e32 v7, v1, v6
	;; [unrolled: 1-line block ×5, first 2 shown]
	v_add_f16_e32 v27, v1, v4
	v_sub_f16_e32 v28, v5, v4
	v_sub_f16_e32 v30, v6, v1
	v_add_f16_e32 v34, v19, v18
	v_add_f16_e32 v5, v5, v29
	v_fma_f16 v0, -0.5, v21, v29
	v_add_f16_e32 v21, v20, v17
	v_sub_f16_e32 v15, v17, v20
	v_add_f16_e32 v3, v7, v3
	v_sub_f16_e32 v7, v4, v1
	v_add_f16_e32 v23, v24, v23
	v_fma_f16 v24, -0.5, v27, v29
	v_add_f16_e32 v27, v30, v28
	v_fma_f16 v28, -0.5, v34, v22
	v_add_f16_e32 v4, v4, v5
	v_add_f16_e32 v5, v22, v17
	v_sub_f16_e32 v2, v18, v19
	v_fma_f16 v21, -0.5, v21, v22
	v_fmamk_f16 v29, v15, 0x3b9c, v24
	v_sub_f16_e32 v30, v17, v18
	v_sub_f16_e32 v34, v20, v19
	v_fmamk_f16 v35, v26, 0xbb9c, v28
	v_add_f16_e32 v1, v1, v4
	v_add_f16_e32 v4, v18, v5
	v_fmamk_f16 v16, v2, 0xbb9c, v0
	v_fmamk_f16 v25, v7, 0x3b9c, v21
	v_fmac_f16_e32 v0, 0x3b9c, v2
	v_fmac_f16_e32 v21, 0xbb9c, v7
	;; [unrolled: 1-line block ×5, first 2 shown]
	v_add_f16_e32 v17, v34, v30
	v_fmac_f16_e32 v35, 0xb8b4, v7
	v_add_f16_e32 v4, v19, v4
	v_fmac_f16_e32 v16, 0x38b4, v15
	v_fmac_f16_e32 v25, 0xb8b4, v26
	;; [unrolled: 1-line block ×8, first 2 shown]
	v_add_f16_e32 v1, v6, v1
	v_add_f16_e32 v4, v20, v4
	v_mov_b32_e32 v2, 2
	v_fmac_f16_e32 v16, 0x34f2, v3
	v_fmac_f16_e32 v25, 0x34f2, v23
	;; [unrolled: 1-line block ×6, first 2 shown]
	v_lshlrev_b32_sdwa v2, v2, v47 dst_sel:DWORD dst_unused:UNUSED_PAD src0_sel:DWORD src1_sel:WORD_0
	v_pack_b32_f16 v1, v4, v1
	v_pack_b32_f16 v3, v35, v29
	;; [unrolled: 1-line block ×5, first 2 shown]
	ds_write2_b32 v2, v1, v3 offset1:66
	ds_write2_b32 v2, v4, v0 offset0:132 offset1:198
	ds_write_b32 v2, v5 offset:1056
.LBB0_29:
	s_or_b32 exec_lo, exec_lo, s0
	v_add_nc_u32_e32 v15, 0x400, v33
	v_add_nc_u32_e32 v16, 0xa00, v33
	;; [unrolled: 1-line block ×3, first 2 shown]
	s_waitcnt lgkmcnt(0)
	s_barrier
	buffer_gl0_inv
	ds_read2_b32 v[0:1], v33 offset1:165
	ds_read2_b32 v[2:3], v15 offset0:74 offset1:239
	ds_read2_b32 v[4:5], v16 offset0:20 offset1:185
	;; [unrolled: 1-line block ×3, first 2 shown]
	s_waitcnt lgkmcnt(3)
	v_lshrrev_b32_e32 v18, 16, v0
	s_waitcnt lgkmcnt(2)
	v_lshrrev_b32_e32 v20, 16, v2
	;; [unrolled: 2-line block ×3, first 2 shown]
	v_mul_f16_sdwa v26, v8, v2 dst_sel:DWORD dst_unused:UNUSED_PAD src0_sel:WORD_1 src1_sel:DWORD
	s_waitcnt lgkmcnt(0)
	v_lshrrev_b32_e32 v22, 16, v6
	v_lshrrev_b32_e32 v23, 16, v3
	;; [unrolled: 1-line block ×4, first 2 shown]
	v_mul_f16_sdwa v27, v9, v4 dst_sel:DWORD dst_unused:UNUSED_PAD src0_sel:WORD_1 src1_sel:DWORD
	v_mul_f16_sdwa v28, v10, v6 dst_sel:DWORD dst_unused:UNUSED_PAD src0_sel:WORD_1 src1_sel:DWORD
	;; [unrolled: 1-line block ×4, first 2 shown]
	v_fma_f16 v20, v8, v20, -v26
	v_mul_f16_sdwa v26, v9, v21 dst_sel:DWORD dst_unused:UNUSED_PAD src0_sel:WORD_1 src1_sel:DWORD
	v_mul_f16_sdwa v30, v12, v5 dst_sel:DWORD dst_unused:UNUSED_PAD src0_sel:WORD_1 src1_sel:DWORD
	;; [unrolled: 1-line block ×3, first 2 shown]
	v_fma_f16 v21, v9, v21, -v27
	v_mul_f16_sdwa v27, v10, v22 dst_sel:DWORD dst_unused:UNUSED_PAD src0_sel:WORD_1 src1_sel:DWORD
	v_fma_f16 v22, v10, v22, -v28
	v_mul_f16_sdwa v28, v11, v23 dst_sel:DWORD dst_unused:UNUSED_PAD src0_sel:WORD_1 src1_sel:DWORD
	;; [unrolled: 2-line block ×3, first 2 shown]
	v_fmac_f16_e32 v26, v9, v4
	v_mul_f16_sdwa v4, v13, v25 dst_sel:DWORD dst_unused:UNUSED_PAD src0_sel:WORD_1 src1_sel:DWORD
	v_lshrrev_b32_e32 v19, 16, v1
	v_fmac_f16_e32 v35, v8, v2
	v_fmac_f16_e32 v27, v10, v6
	v_fma_f16 v2, v12, v24, -v30
	v_fma_f16 v6, v13, v25, -v34
	v_fmac_f16_e32 v28, v11, v3
	v_fmac_f16_e32 v29, v12, v5
	;; [unrolled: 1-line block ×3, first 2 shown]
	v_sub_f16_e32 v8, v0, v26
	v_sub_f16_e32 v9, v35, v27
	;; [unrolled: 1-line block ×8, first 2 shown]
	v_fma_f16 v0, v0, 2.0, -v8
	v_fma_f16 v11, v35, 2.0, -v9
	;; [unrolled: 1-line block ×8, first 2 shown]
	v_sub_f16_e32 v11, v0, v11
	v_sub_f16_e32 v7, v5, v7
	v_add_f16_e32 v10, v8, v10
	v_sub_f16_e32 v18, v1, v18
	v_sub_f16_e32 v19, v13, v19
	;; [unrolled: 1-line block ×3, first 2 shown]
	v_add_f16_e32 v6, v12, v6
	v_sub_f16_e32 v4, v2, v4
	v_fma_f16 v0, v0, 2.0, -v11
	v_fma_f16 v5, v5, 2.0, -v7
	;; [unrolled: 1-line block ×8, first 2 shown]
	v_pack_b32_f16 v0, v0, v5
	v_pack_b32_f16 v1, v1, v13
	;; [unrolled: 1-line block ×8, first 2 shown]
	ds_write2_b32 v33, v0, v1 offset1:165
	ds_write2_b32 v15, v3, v2 offset0:74 offset1:239
	ds_write2_b32 v16, v5, v8 offset0:20 offset1:185
	;; [unrolled: 1-line block ×3, first 2 shown]
	s_waitcnt lgkmcnt(0)
	s_barrier
	buffer_gl0_inv
	s_and_b32 exec_lo, exec_lo, vcc_lo
	s_cbranch_execz .LBB0_31
; %bb.30:
	s_clause 0x4
	global_load_dword v2, v31, s[14:15]
	global_load_dword v3, v31, s[14:15] offset:480
	global_load_dword v6, v31, s[14:15] offset:960
	;; [unrolled: 1-line block ×4, first 2 shown]
	v_add_co_u32 v11, s0, s14, v31
	v_add_co_ci_u32_e64 v24, null, s15, 0, s0
	v_mad_u64_u32 v[15:16], null, s6, v14, 0
	v_add_co_u32 v4, vcc_lo, 0x800, v11
	v_add_co_ci_u32_e32 v5, vcc_lo, 0, v24, vcc_lo
	v_mad_u64_u32 v[17:18], null, s4, v32, 0
	v_mov_b32_e32 v7, v16
	global_load_dword v12, v[4:5], off offset:352
	ds_read_b32 v27, v33
	ds_read2_b32 v[19:20], v31 offset0:120 offset1:240
	v_add_co_u32 v23, vcc_lo, 0x1000, v11
	v_mov_b32_e32 v9, v18
	v_add_nc_u32_e32 v0, 0x400, v31
	v_add_co_ci_u32_e32 v24, vcc_lo, 0, v24, vcc_lo
	v_add_nc_u32_e32 v1, 0x800, v31
	ds_read2_b32 v[21:22], v0 offset0:104 offset1:224
	ds_read2_b32 v[0:1], v1 offset0:88 offset1:208
	s_mov_b32 s18, 0x8d3018d3
	s_mov_b32 s19, 0x3f48d301
	s_mul_i32 s0, s5, 0x1e0
	s_mul_hi_u32 s17, s4, 0x1e0
	s_mul_i32 s20, s4, 0x1e0
	s_add_i32 s17, s17, s0
	s_waitcnt lgkmcnt(1)
	v_lshrrev_b32_e32 v28, 16, v22
	s_waitcnt lgkmcnt(0)
	v_lshrrev_b32_e32 v36, 16, v0
	s_waitcnt vmcnt(3)
	v_mul_f16_sdwa v30, v20, v6 dst_sel:DWORD dst_unused:UNUSED_PAD src0_sel:DWORD src1_sel:WORD_1
	s_waitcnt vmcnt(2)
	v_mad_u64_u32 v[13:14], null, s7, v14, v[7:8]
	s_waitcnt vmcnt(1)
	v_mad_u64_u32 v[25:26], null, s5, v32, v[9:10]
	s_clause 0x4
	global_load_dword v11, v[4:5], off offset:832
	global_load_dword v9, v[4:5], off offset:1312
	;; [unrolled: 1-line block ×5, first 2 shown]
	v_lshrrev_b32_e32 v23, 16, v27
	v_lshrrev_b32_e32 v24, 16, v19
	v_mov_b32_e32 v16, v13
	v_lshrrev_b32_e32 v26, 16, v21
	v_mov_b32_e32 v18, v25
	v_lshrrev_b32_e32 v25, 16, v20
	v_mul_f16_sdwa v33, v21, v8 dst_sel:DWORD dst_unused:UNUSED_PAD src0_sel:DWORD src1_sel:WORD_1
	v_lshlrev_b64 v[13:14], 2, v[15:16]
	v_mul_f16_sdwa v32, v26, v8 dst_sel:DWORD dst_unused:UNUSED_PAD src0_sel:DWORD src1_sel:WORD_1
	v_lshlrev_b64 v[15:16], 2, v[17:18]
	v_mul_f16_sdwa v17, v24, v3 dst_sel:DWORD dst_unused:UNUSED_PAD src0_sel:DWORD src1_sel:WORD_1
	v_mul_f16_sdwa v18, v19, v3 dst_sel:DWORD dst_unused:UNUSED_PAD src0_sel:DWORD src1_sel:WORD_1
	;; [unrolled: 1-line block ×3, first 2 shown]
	v_add_co_u32 v13, vcc_lo, s12, v13
	v_add_co_ci_u32_e32 v14, vcc_lo, s13, v14, vcc_lo
	v_fmac_f16_e32 v17, v19, v3
	v_add_co_u32 v13, vcc_lo, v13, v15
	v_mul_f16_sdwa v15, v23, v2 dst_sel:DWORD dst_unused:UNUSED_PAD src0_sel:DWORD src1_sel:WORD_1
	v_add_co_ci_u32_e32 v14, vcc_lo, v14, v16, vcc_lo
	v_mul_f16_sdwa v16, v27, v2 dst_sel:DWORD dst_unused:UNUSED_PAD src0_sel:DWORD src1_sel:WORD_1
	v_cvt_f32_f16_e32 v17, v17
	v_fmac_f16_e32 v15, v27, v2
	v_fmac_f16_e32 v29, v20, v6
	v_mul_f16_sdwa v34, v28, v10 dst_sel:DWORD dst_unused:UNUSED_PAD src0_sel:DWORD src1_sel:WORD_1
	v_fma_f16 v2, v2, v23, -v16
	v_fma_f16 v16, v3, v24, -v18
	v_cvt_f32_f16_e32 v3, v15
	v_cvt_f64_f32_e32 v[17:18], v17
	v_fma_f16 v6, v6, v25, -v30
	v_cvt_f32_f16_e32 v15, v2
	v_cvt_f32_f16_e32 v19, v16
	v_cvt_f64_f32_e32 v[2:3], v3
	v_fmac_f16_e32 v32, v21, v8
	v_cvt_f32_f16_e32 v21, v29
	v_cvt_f64_f32_e32 v[15:16], v15
	v_cvt_f64_f32_e32 v[19:20], v19
	v_mul_f16_sdwa v35, v22, v10 dst_sel:DWORD dst_unused:UNUSED_PAD src0_sel:DWORD src1_sel:WORD_1
	v_fma_f16 v8, v8, v26, -v33
	v_fmac_f16_e32 v34, v22, v10
	v_cvt_f32_f16_e32 v6, v6
	s_waitcnt vmcnt(5)
	v_mul_f16_sdwa v26, v36, v12 dst_sel:DWORD dst_unused:UNUSED_PAD src0_sel:DWORD src1_sel:WORD_1
	v_cvt_f64_f32_e32 v[21:22], v21
	v_cvt_f32_f16_e32 v25, v32
	v_cvt_f32_f16_e32 v8, v8
	v_cvt_f64_f32_e32 v[23:24], v6
	v_fmac_f16_e32 v26, v0, v12
	v_mul_f16_sdwa v0, v0, v12 dst_sel:DWORD dst_unused:UNUSED_PAD src0_sel:DWORD src1_sel:WORD_1
	v_fma_f16 v10, v10, v28, -v35
	v_cvt_f32_f16_e32 v29, v34
	v_mul_f64 v[17:18], v[17:18], s[18:19]
	v_cvt_f32_f16_e32 v6, v26
	v_cvt_f64_f32_e32 v[25:26], v25
	v_fma_f16 v0, v12, v36, -v0
	v_mul_f64 v[2:3], v[2:3], s[18:19]
	v_cvt_f64_f32_e32 v[27:28], v8
	v_cvt_f32_f16_e32 v10, v10
	v_mul_f64 v[15:16], v[15:16], s[18:19]
	v_mul_f64 v[19:20], v[19:20], s[18:19]
	v_cvt_f32_f16_e32 v0, v0
	v_cvt_f64_f32_e32 v[29:30], v29
	v_add_co_u32 v36, vcc_lo, v13, s20
	v_add_co_ci_u32_e32 v37, vcc_lo, s17, v14, vcc_lo
	v_mul_f64 v[21:22], v[21:22], s[18:19]
	v_cvt_f64_f32_e32 v[40:41], v0
	v_cvt_f64_f32_e32 v[32:33], v10
	v_add_co_u32 v38, vcc_lo, v36, s20
	v_mul_f64 v[23:24], v[23:24], s[18:19]
	v_add_co_ci_u32_e32 v39, vcc_lo, s17, v37, vcc_lo
	v_cvt_f64_f32_e32 v[34:35], v6
	v_mul_f64 v[25:26], v[25:26], s[18:19]
	v_bfe_u32 v42, v18, 20, 11
	v_and_or_b32 v0, 0x1ff, v3, v2
	v_mul_f64 v[27:28], v[27:28], s[18:19]
	v_lshrrev_b32_e32 v2, 8, v3
	v_and_or_b32 v8, 0x1ff, v16, v15
	v_lshrrev_b32_e32 v10, 8, v16
	v_cmp_ne_u32_e32 vcc_lo, 0, v0
	v_bfe_u32 v12, v16, 20, 11
	v_lshrrev_b32_e32 v15, 16, v16
	v_and_or_b32 v16, 0x1ff, v18, v17
	v_and_or_b32 v19, 0x1ff, v20, v19
	v_cndmask_b32_e64 v0, 0, 1, vcc_lo
	v_cmp_ne_u32_e32 vcc_lo, 0, v8
	v_mul_f64 v[29:30], v[29:30], s[18:19]
	v_and_or_b32 v21, 0x1ff, v22, v21
	v_mul_f64 v[32:33], v[32:33], s[18:19]
	v_bfe_u32 v6, v3, 20, 11
	v_cndmask_b32_e64 v8, 0, 1, vcc_lo
	v_cmp_ne_u32_e32 vcc_lo, 0, v16
	v_and_or_b32 v23, 0x1ff, v24, v23
	v_and_or_b32 v0, 0xffe, v2, v0
	;; [unrolled: 1-line block ×3, first 2 shown]
	v_lshrrev_b32_e32 v17, 8, v18
	v_cndmask_b32_e64 v16, 0, 1, vcc_lo
	v_cmp_ne_u32_e32 vcc_lo, 0, v19
	v_and_or_b32 v27, 0x1ff, v28, v27
	v_bfe_u32 v44, v20, 20, 11
	v_sub_nc_u32_e32 v57, 0x3f1, v6
	v_add_nc_u32_e32 v6, 0xfffffc10, v6
	v_cndmask_b32_e64 v19, 0, 1, vcc_lo
	v_cmp_ne_u32_e32 vcc_lo, 0, v21
	v_sub_nc_u32_e32 v58, 0x3f1, v12
	v_and_or_b32 v8, 0xffe, v10, v8
	v_lshrrev_b32_e32 v43, 8, v20
	v_bfe_u32 v46, v22, 20, 11
	v_cndmask_b32_e64 v21, 0, 1, vcc_lo
	v_cmp_ne_u32_e32 vcc_lo, 0, v23
	v_and_or_b32 v29, 0x1ff, v30, v29
	v_and_or_b32 v32, 0x1ff, v33, v32
	v_bfe_u32 v48, v24, 20, 11
	v_add_nc_u32_e32 v12, 0xfffffc10, v12
	v_cndmask_b32_e64 v23, 0, 1, vcc_lo
	v_cmp_ne_u32_e32 vcc_lo, 0, v25
	v_sub_nc_u32_e32 v59, 0x3f1, v42
	v_sub_nc_u32_e32 v60, 0x3f1, v44
	v_med3_i32 v2, v57, 0, 13
	v_med3_i32 v10, v58, 0, 13
	v_cndmask_b32_e64 v25, 0, 1, vcc_lo
	v_cmp_ne_u32_e32 vcc_lo, 0, v27
	v_and_or_b32 v16, 0xffe, v17, v16
	v_or_b32_e32 v57, 0x1000, v0
	v_lshl_or_b32 v58, v6, 12, v0
	v_lshrrev_b32_e32 v45, 8, v22
	v_cndmask_b32_e64 v27, 0, 1, vcc_lo
	v_cmp_ne_u32_e32 vcc_lo, 0, v29
	v_lshrrev_b32_e32 v47, 8, v24
	v_bfe_u32 v50, v26, 20, 11
	v_bfe_u32 v52, v28, 20, 11
	v_add_nc_u32_e32 v42, 0xfffffc10, v42
	v_cndmask_b32_e64 v29, 0, 1, vcc_lo
	v_cmp_ne_u32_e32 vcc_lo, 0, v32
	v_sub_nc_u32_e32 v61, 0x3f1, v46
	v_sub_nc_u32_e32 v62, 0x3f1, v48
	v_med3_i32 v17, v59, 0, 13
	v_and_or_b32 v19, 0xffe, v43, v19
	v_cndmask_b32_e64 v32, 0, 1, vcc_lo
	v_cmp_ne_u32_e32 vcc_lo, 0, v0
	v_med3_i32 v43, v60, 0, 13
	v_or_b32_e32 v59, 0x1000, v8
	v_lshl_or_b32 v60, v12, 12, v8
	v_lshrrev_b32_e32 v49, 8, v26
	v_cndmask_b32_e64 v0, 0, 1, vcc_lo
	v_cmp_ne_u32_e32 vcc_lo, 0, v8
	v_lshrrev_b32_e32 v51, 8, v28
	v_bfe_u32 v54, v30, 20, 11
	v_bfe_u32 v56, v33, 20, 11
	v_add_nc_u32_e32 v44, 0xfffffc10, v44
	v_cndmask_b32_e64 v8, 0, 1, vcc_lo
	v_cmp_ne_u32_e32 vcc_lo, 0, v16
	v_sub_nc_u32_e32 v63, 0x3f1, v50
	v_sub_nc_u32_e32 v64, 0x3f1, v52
	v_and_or_b32 v21, 0xffe, v45, v21
	v_med3_i32 v45, v61, 0, 13
	v_and_or_b32 v23, 0xffe, v47, v23
	v_med3_i32 v47, v62, 0, 13
	v_or_b32_e32 v61, 0x1000, v16
	v_lshl_or_b32 v62, v42, 12, v16
	v_cndmask_b32_e64 v16, 0, 1, vcc_lo
	v_cmp_ne_u32_e32 vcc_lo, 0, v19
	v_lshrrev_b32_e32 v53, 8, v30
	v_lshrrev_b32_e32 v55, 8, v33
	v_add_nc_u32_e32 v46, 0xfffffc10, v46
	v_sub_nc_u32_e32 v65, 0x3f1, v54
	v_sub_nc_u32_e32 v66, 0x3f1, v56
	v_and_or_b32 v25, 0xffe, v49, v25
	v_med3_i32 v49, v63, 0, 13
	v_and_or_b32 v27, 0xffe, v51, v27
	v_med3_i32 v51, v64, 0, 13
	v_or_b32_e32 v63, 0x1000, v19
	v_lshl_or_b32 v64, v44, 12, v19
	v_cndmask_b32_e64 v19, 0, 1, vcc_lo
	v_cmp_ne_u32_e32 vcc_lo, 0, v21
	v_add_nc_u32_e32 v48, 0xfffffc10, v48
	v_and_or_b32 v29, 0xffe, v53, v29
	v_med3_i32 v53, v65, 0, 13
	v_and_or_b32 v32, 0xffe, v55, v32
	v_med3_i32 v55, v66, 0, 13
	v_or_b32_e32 v65, 0x1000, v21
	v_lshl_or_b32 v66, v46, 12, v21
	v_cndmask_b32_e64 v21, 0, 1, vcc_lo
	v_cmp_ne_u32_e32 vcc_lo, 0, v23
	v_add_nc_u32_e32 v50, 0xfffffc10, v50
	v_or_b32_e32 v67, 0x1000, v23
	v_lshl_or_b32 v68, v48, 12, v23
	v_add_nc_u32_e32 v52, 0xfffffc10, v52
	v_cndmask_b32_e64 v23, 0, 1, vcc_lo
	v_cmp_ne_u32_e32 vcc_lo, 0, v25
	v_or_b32_e32 v69, 0x1000, v25
	v_lshl_or_b32 v70, v50, 12, v25
	v_lshrrev_b32_e32 v77, v2, v57
	v_add_nc_u32_e32 v54, 0xfffffc10, v54
	v_cndmask_b32_e64 v25, 0, 1, vcc_lo
	v_cmp_ne_u32_e32 vcc_lo, 0, v27
	v_or_b32_e32 v71, 0x1000, v27
	v_lshl_or_b32 v72, v52, 12, v27
	v_lshrrev_b32_e32 v78, v10, v59
	v_lshlrev_b32_e32 v2, v2, v77
	v_cndmask_b32_e64 v27, 0, 1, vcc_lo
	v_cmp_ne_u32_e32 vcc_lo, 0, v29
	v_or_b32_e32 v73, 0x1000, v29
	v_lshl_or_b32 v74, v54, 12, v29
	v_lshrrev_b32_e32 v79, v17, v61
	v_lshlrev_b32_e32 v10, v10, v78
	v_cndmask_b32_e64 v29, 0, 1, vcc_lo
	v_cmp_ne_u32_e32 vcc_lo, v2, v57
	v_lshrrev_b32_e32 v80, v43, v63
	v_lshlrev_b32_e32 v17, v17, v79
	v_lshrrev_b32_e32 v81, v45, v65
	v_lshrrev_b32_e32 v82, v47, v67
	v_cndmask_b32_e64 v2, 0, 1, vcc_lo
	v_cmp_ne_u32_e32 vcc_lo, v10, v59
	v_lshlrev_b32_e32 v43, v43, v80
	v_lshlrev_b32_e32 v45, v45, v81
	v_lshrrev_b32_e32 v83, v49, v69
	v_lshlrev_b32_e32 v47, v47, v82
	v_cndmask_b32_e64 v10, 0, 1, vcc_lo
	v_cmp_ne_u32_e32 vcc_lo, v17, v61
	v_lshrrev_b32_e32 v84, v51, v71
	v_lshlrev_b32_e32 v49, v49, v83
	v_or_b32_e32 v75, 0x1000, v32
	v_lshrrev_b32_e32 v85, v53, v73
	v_cndmask_b32_e64 v17, 0, 1, vcc_lo
	v_cmp_ne_u32_e32 vcc_lo, v43, v63
	v_lshlrev_b32_e32 v51, v51, v84
	v_lshrrev_b32_e32 v86, v55, v75
	v_lshlrev_b32_e32 v53, v53, v85
	v_or_b32_e32 v2, v77, v2
	v_cndmask_b32_e64 v43, 0, 1, vcc_lo
	v_cmp_ne_u32_e32 vcc_lo, v45, v65
	v_lshlrev_b32_e32 v55, v55, v86
	v_or_b32_e32 v10, v78, v10
	v_or_b32_e32 v17, v79, v17
	;; [unrolled: 1-line block ×3, first 2 shown]
	v_cndmask_b32_e64 v45, 0, 1, vcc_lo
	v_cmp_ne_u32_e32 vcc_lo, v47, v67
	v_add_nc_u32_e32 v56, 0xfffffc10, v56
	v_lshl_or_b32 v0, v0, 9, 0x7c00
	v_lshl_or_b32 v8, v8, 9, 0x7c00
	v_or_b32_e32 v45, v81, v45
	v_cndmask_b32_e64 v47, 0, 1, vcc_lo
	v_cmp_ne_u32_e32 vcc_lo, v49, v69
	v_lshl_or_b32 v76, v56, 12, v32
	v_lshl_or_b32 v16, v16, 9, 0x7c00
	;; [unrolled: 1-line block ×3, first 2 shown]
	v_or_b32_e32 v47, v82, v47
	v_cndmask_b32_e64 v49, 0, 1, vcc_lo
	v_cmp_ne_u32_e32 vcc_lo, v51, v71
	v_mul_f64 v[34:35], v[34:35], s[18:19]
	v_lshl_or_b32 v21, v21, 9, 0x7c00
	v_lshl_or_b32 v23, v23, 9, 0x7c00
	v_or_b32_e32 v49, v83, v49
	v_cndmask_b32_e64 v51, 0, 1, vcc_lo
	v_cmp_ne_u32_e32 vcc_lo, v53, v73
	v_lshrrev_b32_e32 v3, 16, v3
	v_lshrrev_b32_e32 v18, 16, v18
	v_lshl_or_b32 v25, v25, 9, 0x7c00
	v_or_b32_e32 v51, v84, v51
	v_cndmask_b32_e64 v53, 0, 1, vcc_lo
	v_cmp_ne_u32_e32 vcc_lo, v55, v75
	v_lshrrev_b32_e32 v22, 16, v22
	v_lshrrev_b32_e32 v20, 16, v20
	v_lshl_or_b32 v27, v27, 9, 0x7c00
	v_or_b32_e32 v53, v85, v53
	v_cndmask_b32_e64 v55, 0, 1, vcc_lo
	v_cmp_gt_i32_e32 vcc_lo, 1, v6
	v_lshrrev_b32_e32 v24, 16, v24
	v_lshl_or_b32 v29, v29, 9, 0x7c00
	v_lshrrev_b32_e32 v26, 16, v26
	v_or_b32_e32 v55, v86, v55
	v_cndmask_b32_e32 v2, v58, v2, vcc_lo
	v_cmp_gt_i32_e32 vcc_lo, 1, v12
	v_and_or_b32 v34, 0x1ff, v35, v34
	v_lshrrev_b32_e32 v28, 16, v28
	v_and_b32_e32 v57, 7, v2
	v_cndmask_b32_e32 v10, v60, v10, vcc_lo
	v_cmp_gt_i32_e32 vcc_lo, 1, v42
	v_lshrrev_b32_e32 v2, 2, v2
	v_cmp_eq_u32_e64 s0, 3, v57
	v_and_b32_e32 v58, 7, v10
	v_cndmask_b32_e32 v17, v62, v17, vcc_lo
	v_cmp_gt_i32_e32 vcc_lo, 1, v44
	v_lshrrev_b32_e32 v10, 2, v10
	v_cmp_lt_i32_e64 s1, 5, v58
	v_and_b32_e32 v59, 7, v17
	v_cndmask_b32_e32 v43, v64, v43, vcc_lo
	v_cmp_gt_i32_e32 vcc_lo, 1, v46
	v_cmp_eq_u32_e64 s2, 3, v58
	v_lshrrev_b32_e32 v17, 2, v17
	v_cmp_lt_i32_e64 s3, 5, v59
	v_and_b32_e32 v60, 7, v43
	v_cndmask_b32_e32 v45, v66, v45, vcc_lo
	v_cmp_gt_i32_e32 vcc_lo, 1, v48
	v_cmp_eq_u32_e64 s4, 3, v59
	;; [unrolled: 6-line block ×6, first 2 shown]
	v_lshrrev_b32_e32 v51, 2, v51
	v_cmp_lt_i32_e64 s13, 5, v64
	v_and_b32_e32 v65, 7, v53
	v_cndmask_b32_e32 v55, v76, v55, vcc_lo
	v_cmp_lt_i32_e32 vcc_lo, 5, v57
	v_cmp_eq_u32_e64 s14, 3, v64
	v_lshrrev_b32_e32 v53, 2, v53
	v_cmp_lt_i32_e64 s15, 5, v65
	v_cmp_eq_u32_e64 s16, 3, v65
	s_or_b32 vcc_lo, s0, vcc_lo
	v_add_co_ci_u32_e32 v2, vcc_lo, 0, v2, vcc_lo
	s_or_b32 vcc_lo, s2, s1
	v_add_co_ci_u32_e32 v10, vcc_lo, 0, v10, vcc_lo
	s_or_b32 vcc_lo, s4, s3
	;; [unrolled: 2-line block ×8, first 2 shown]
	v_add_co_ci_u32_e32 v53, vcc_lo, 0, v53, vcc_lo
	v_cmp_gt_i32_e32 vcc_lo, 31, v6
	v_cndmask_b32_e32 v2, 0x7c00, v2, vcc_lo
	v_cmp_gt_i32_e32 vcc_lo, 31, v12
	v_cndmask_b32_e32 v10, 0x7c00, v10, vcc_lo
	;; [unrolled: 2-line block ×9, first 2 shown]
	v_cmp_eq_u32_e32 vcc_lo, 0x40f, v6
	v_cndmask_b32_e32 v0, v2, v0, vcc_lo
	v_cmp_eq_u32_e32 vcc_lo, 0x40f, v12
	v_and_or_b32 v0, 0x8000, v3, v0
	v_cndmask_b32_e32 v2, v10, v8, vcc_lo
	v_cmp_eq_u32_e32 vcc_lo, 0x40f, v42
	v_and_b32_e32 v0, 0xffff, v0
	v_and_or_b32 v2, 0x8000, v15, v2
	v_cndmask_b32_e32 v6, v17, v16, vcc_lo
	v_cmp_eq_u32_e32 vcc_lo, 0x40f, v44
	v_lshl_or_b32 v0, v2, 16, v0
	v_and_or_b32 v3, 0x8000, v18, v6
	v_cndmask_b32_e32 v8, v43, v19, vcc_lo
	v_cmp_eq_u32_e32 vcc_lo, 0x40f, v46
	v_lshrrev_b32_e32 v19, 16, v1
	v_and_b32_e32 v3, 0xffff, v3
	v_and_or_b32 v8, 0x8000, v20, v8
	v_cndmask_b32_e32 v10, v45, v21, vcc_lo
	v_cmp_eq_u32_e32 vcc_lo, 0x40f, v48
	s_waitcnt vmcnt(4)
	v_mul_f16_sdwa v20, v19, v11 dst_sel:DWORD dst_unused:UNUSED_PAD src0_sel:DWORD src1_sel:WORD_1
	v_lshl_or_b32 v2, v8, 16, v3
	v_and_or_b32 v6, 0x8000, v22, v10
	v_cndmask_b32_e32 v12, v47, v23, vcc_lo
	v_cmp_eq_u32_e32 vcc_lo, 0x40f, v50
	v_fmac_f16_e32 v20, v1, v11
	v_and_b32_e32 v6, 0xffff, v6
	v_and_or_b32 v10, 0x8000, v24, v12
	v_cndmask_b32_e32 v16, v49, v25, vcc_lo
	v_cmp_eq_u32_e32 vcc_lo, 0x40f, v52
	v_lshl_or_b32 v3, v10, 16, v6
	global_store_dword v[13:14], v0, off
	global_store_dword v[36:37], v2, off
	;; [unrolled: 1-line block ×3, first 2 shown]
	v_cndmask_b32_e32 v17, v51, v27, vcc_lo
	v_cmp_eq_u32_e32 vcc_lo, 0x40f, v54
	v_and_b32_e32 v0, 7, v55
	v_lshrrev_b32_e32 v3, 8, v35
	v_bfe_u32 v10, v35, 20, 11
	v_and_or_b32 v15, 0x8000, v26, v16
	v_cndmask_b32_e32 v12, v53, v29, vcc_lo
	v_cmp_ne_u32_e32 vcc_lo, 0, v34
	v_cmp_eq_u32_e64 s0, 3, v0
	v_sub_nc_u32_e32 v13, 0x3f1, v10
	v_and_b32_e32 v8, 0xffff, v15
	v_and_or_b32 v6, 0x8000, v28, v17
	v_cndmask_b32_e64 v2, 0, 1, vcc_lo
	v_cmp_lt_i32_e32 vcc_lo, 5, v0
	v_lshrrev_b32_e32 v0, 2, v55
	v_med3_i32 v13, v13, 0, 13
	v_lshl_or_b32 v6, v6, 16, v8
	v_and_or_b32 v18, 0xffe, v3, v2
	v_mul_f64 v[2:3], v[40:41], s[18:19]
	s_or_b32 vcc_lo, s0, vcc_lo
	v_lshrrev_b32_e32 v16, 16, v30
	v_add_co_ci_u32_e32 v0, vcc_lo, 0, v0, vcc_lo
	v_cmp_ne_u32_e32 vcc_lo, 0, v32
	v_or_b32_e32 v15, 0x1000, v18
	v_add_nc_u32_e32 v21, 0xfffffc10, v10
	v_cvt_f32_f16_e32 v10, v20
	v_and_or_b32 v16, 0x8000, v16, v12
	v_cndmask_b32_e64 v14, 0, 1, vcc_lo
	v_cmp_gt_i32_e32 vcc_lo, 31, v56
	v_lshrrev_b32_e32 v17, v13, v15
	v_mul_f16_sdwa v26, v1, v11 dst_sel:DWORD dst_unused:UNUSED_PAD src0_sel:DWORD src1_sel:WORD_1
	v_and_b32_e32 v16, 0xffff, v16
	v_lshl_or_b32 v14, v14, 9, 0x7c00
	v_cndmask_b32_e32 v0, 0x7c00, v0, vcc_lo
	v_cmp_eq_u32_e32 vcc_lo, 0x40f, v56
	v_lshlrev_b32_e32 v8, v13, v17
	v_cvt_f64_f32_e32 v[12:13], v10
	v_lshl_or_b32 v10, v21, 12, v18
	v_fma_f16 v11, v11, v19, -v26
	v_cndmask_b32_e32 v0, v0, v14, vcc_lo
	v_and_or_b32 v2, 0x1ff, v3, v2
	v_cmp_ne_u32_e32 vcc_lo, v8, v15
	v_lshrrev_b32_e32 v14, 16, v33
	v_bfe_u32 v20, v3, 20, 11
	v_cvt_f32_f16_e32 v11, v11
	v_cndmask_b32_e64 v8, 0, 1, vcc_lo
	v_cmp_ne_u32_e32 vcc_lo, 0, v2
	v_and_or_b32 v0, 0x8000, v14, v0
	v_lshrrev_b32_e32 v14, 8, v3
	v_add_nc_u32_e32 v19, 0xfffffc10, v20
	v_or_b32_e32 v8, v17, v8
	v_cndmask_b32_e64 v2, 0, 1, vcc_lo
	v_cmp_gt_i32_e32 vcc_lo, 1, v21
	v_lshl_or_b32 v23, v0, 16, v16
	v_and_or_b32 v2, 0xffe, v14, v2
	v_sub_nc_u32_e32 v14, 0x3f1, v20
	v_cndmask_b32_e32 v8, v10, v8, vcc_lo
	v_mul_f64 v[0:1], v[12:13], s[18:19]
	v_or_b32_e32 v10, 0x1000, v2
	v_med3_i32 v22, v14, 0, 13
	v_add_co_u32 v14, vcc_lo, v38, s20
	v_add_co_ci_u32_e32 v15, vcc_lo, s17, v39, vcc_lo
	v_lshrrev_b32_e32 v25, v22, v10
	v_and_b32_e32 v24, 7, v8
	v_add_co_u32 v16, vcc_lo, v14, s20
	v_add_co_ci_u32_e32 v17, vcc_lo, s17, v15, vcc_lo
	v_lshlrev_b32_e32 v12, v22, v25
	v_cmp_lt_i32_e32 vcc_lo, 5, v24
	v_cmp_eq_u32_e64 s0, 3, v24
	v_lshrrev_b32_e32 v8, 2, v8
	v_lshl_or_b32 v22, v19, 12, v2
	v_cmp_ne_u32_e64 s1, v12, v10
	v_add_nc_u32_e32 v12, 0xc00, v31
	s_or_b32 vcc_lo, s0, vcc_lo
	v_and_or_b32 v0, 0x1ff, v1, v0
	v_add_co_ci_u32_e32 v8, vcc_lo, 0, v8, vcc_lo
	v_cndmask_b32_e64 v10, 0, 1, s1
	v_cmp_ne_u32_e32 vcc_lo, 0, v18
	ds_read2_b32 v[12:13], v12 offset0:72 offset1:192
	v_lshrrev_b32_e32 v24, 8, v1
	global_store_dword v[14:15], v6, off
	global_store_dword v[16:17], v23, off
	v_or_b32_e32 v20, v25, v10
	v_cvt_f64_f32_e32 v[10:11], v11
	v_cndmask_b32_e64 v18, 0, 1, vcc_lo
	v_cmp_gt_i32_e32 vcc_lo, 1, v19
	v_bfe_u32 v25, v1, 20, 11
	v_lshrrev_b32_e32 v23, 16, v1
	v_lshl_or_b32 v18, v18, 9, 0x7c00
	v_cndmask_b32_e32 v20, v22, v20, vcc_lo
	v_cmp_gt_i32_e32 vcc_lo, 31, v21
	v_and_b32_e32 v22, 7, v20
	v_cndmask_b32_e32 v8, 0x7c00, v8, vcc_lo
	v_cmp_ne_u32_e32 vcc_lo, 0, v0
	v_lshrrev_b32_e32 v20, 2, v20
	v_cmp_eq_u32_e64 s0, 3, v22
	v_cndmask_b32_e64 v0, 0, 1, vcc_lo
	v_cmp_eq_u32_e32 vcc_lo, 0x40f, v21
	v_sub_nc_u32_e32 v21, 0x3f1, v25
	v_mul_f64 v[10:11], v[10:11], s[18:19]
	v_and_or_b32 v0, 0xffe, v24, v0
	v_cndmask_b32_e32 v8, v8, v18, vcc_lo
	v_cmp_lt_i32_e32 vcc_lo, 5, v22
	v_med3_i32 v21, v21, 0, 13
	s_waitcnt lgkmcnt(0)
	v_lshrrev_b32_e32 v24, 16, v12
	v_or_b32_e32 v22, 0x1000, v0
	v_lshrrev_b32_e32 v18, 16, v35
	s_or_b32 vcc_lo, s0, vcc_lo
	v_add_co_ci_u32_e32 v20, vcc_lo, 0, v20, vcc_lo
	v_cmp_ne_u32_e32 vcc_lo, 0, v2
	v_lshrrev_b32_e32 v27, v21, v22
	s_waitcnt vmcnt(3)
	v_mul_f16_sdwa v26, v24, v9 dst_sel:DWORD dst_unused:UNUSED_PAD src0_sel:DWORD src1_sel:WORD_1
	v_and_or_b32 v8, 0x8000, v18, v8
	v_cndmask_b32_e64 v2, 0, 1, vcc_lo
	v_cmp_gt_i32_e32 vcc_lo, 31, v19
	v_lshlrev_b32_e32 v18, v21, v27
	v_fmac_f16_e32 v26, v12, v9
	v_and_or_b32 v10, 0x1ff, v11, v10
	v_lshl_or_b32 v2, v2, 9, 0x7c00
	v_cndmask_b32_e32 v20, 0x7c00, v20, vcc_lo
	v_cmp_eq_u32_e32 vcc_lo, 0x40f, v19
	v_cvt_f32_f16_e32 v21, v26
	v_and_b32_e32 v8, 0xffff, v8
	v_mul_f16_sdwa v12, v12, v9 dst_sel:DWORD dst_unused:UNUSED_PAD src0_sel:DWORD src1_sel:WORD_1
	v_cndmask_b32_e32 v19, v20, v2, vcc_lo
	v_cmp_ne_u32_e32 vcc_lo, v18, v22
	v_lshrrev_b32_e32 v20, 16, v3
	v_cvt_f64_f32_e32 v[2:3], v21
	v_add_nc_u32_e32 v21, 0xfffffc10, v25
	v_lshrrev_b32_e32 v22, 8, v11
	v_cndmask_b32_e64 v18, 0, 1, vcc_lo
	v_cmp_ne_u32_e32 vcc_lo, 0, v10
	v_bfe_u32 v25, v11, 20, 11
	v_and_or_b32 v19, 0x8000, v20, v19
	v_lshl_or_b32 v20, v21, 12, v0
	v_or_b32_e32 v18, v27, v18
	v_cndmask_b32_e64 v10, 0, 1, vcc_lo
	v_cmp_gt_i32_e32 vcc_lo, 1, v21
	v_lshl_or_b32 v6, v19, 16, v8
	v_fma_f16 v9, v9, v24, -v12
	v_add_nc_u32_e32 v12, 0xfffffc10, v25
	v_and_or_b32 v10, 0xffe, v22, v10
	v_sub_nc_u32_e32 v22, 0x3f1, v25
	v_cndmask_b32_e32 v18, v20, v18, vcc_lo
	v_add_co_u32 v14, vcc_lo, v16, s20
	v_or_b32_e32 v20, 0x1000, v10
	v_med3_i32 v22, v22, 0, 13
	v_and_b32_e32 v8, 7, v18
	v_mul_f64 v[2:3], v[2:3], s[18:19]
	v_add_co_ci_u32_e32 v15, vcc_lo, s17, v17, vcc_lo
	v_lshrrev_b32_e32 v19, v22, v20
	v_cmp_lt_i32_e32 vcc_lo, 5, v8
	v_cmp_eq_u32_e64 s0, 3, v8
	v_lshrrev_b32_e32 v8, 2, v18
	v_lshl_or_b32 v18, v12, 12, v10
	v_lshlrev_b32_e32 v16, v22, v19
	v_lshrrev_b32_e32 v11, 16, v11
	s_or_b32 vcc_lo, s0, vcc_lo
	global_store_dword v[14:15], v6, off
	v_add_co_ci_u32_e32 v17, vcc_lo, 0, v8, vcc_lo
	v_cmp_ne_u32_e64 s1, v16, v20
	v_cvt_f32_f16_e32 v8, v9
	v_cmp_ne_u32_e32 vcc_lo, 0, v0
	v_cndmask_b32_e64 v16, 0, 1, s1
	v_cvt_f64_f32_e32 v[8:9], v8
	v_cndmask_b32_e64 v0, 0, 1, vcc_lo
	v_cmp_gt_i32_e32 vcc_lo, 1, v12
	v_and_or_b32 v2, 0x1ff, v3, v2
	v_or_b32_e32 v16, v19, v16
	v_lshrrev_b32_e32 v19, 8, v3
	v_lshl_or_b32 v0, v0, 9, 0x7c00
	v_bfe_u32 v20, v3, 20, 11
	v_lshrrev_b32_e32 v3, 16, v3
	v_cndmask_b32_e32 v16, v18, v16, vcc_lo
	v_cmp_gt_i32_e32 vcc_lo, 31, v21
	v_and_b32_e32 v18, 7, v16
	v_cndmask_b32_e32 v17, 0x7c00, v17, vcc_lo
	v_cmp_ne_u32_e32 vcc_lo, 0, v2
	v_lshrrev_b32_e32 v16, 2, v16
	v_cmp_eq_u32_e64 s0, 3, v18
	v_cndmask_b32_e64 v2, 0, 1, vcc_lo
	v_cmp_eq_u32_e32 vcc_lo, 0x40f, v21
	v_mul_f64 v[8:9], v[8:9], s[18:19]
	v_and_or_b32 v2, 0xffe, v19, v2
	v_cndmask_b32_e32 v17, v17, v0, vcc_lo
	v_cmp_lt_i32_e32 vcc_lo, 5, v18
	v_lshrrev_b32_e32 v18, 16, v13
	v_sub_nc_u32_e32 v0, 0x3f1, v20
	v_or_b32_e32 v19, 0x1000, v2
	v_and_or_b32 v17, 0x8000, v23, v17
	s_or_b32 vcc_lo, s0, vcc_lo
	s_waitcnt vmcnt(2)
	v_mul_f16_sdwa v21, v18, v7 dst_sel:DWORD dst_unused:UNUSED_PAD src0_sel:DWORD src1_sel:WORD_1
	v_add_co_ci_u32_e32 v16, vcc_lo, 0, v16, vcc_lo
	v_med3_i32 v0, v0, 0, 13
	v_cmp_ne_u32_e32 vcc_lo, 0, v10
	v_fmac_f16_e32 v21, v13, v7
	v_and_b32_e32 v17, 0xffff, v17
	v_mul_f16_sdwa v13, v13, v7 dst_sel:DWORD dst_unused:UNUSED_PAD src0_sel:DWORD src1_sel:WORD_1
	v_lshrrev_b32_e32 v22, v0, v19
	v_cndmask_b32_e64 v10, 0, 1, vcc_lo
	v_cmp_gt_i32_e32 vcc_lo, 31, v12
	v_cvt_f32_f16_e32 v1, v21
	v_and_or_b32 v8, 0x1ff, v9, v8
	v_lshlrev_b32_e32 v21, v0, v22
	v_lshl_or_b32 v10, v10, 9, 0x7c00
	v_cndmask_b32_e32 v16, 0x7c00, v16, vcc_lo
	v_cmp_eq_u32_e32 vcc_lo, 0x40f, v12
	v_cvt_f64_f32_e32 v[0:1], v1
	v_fma_f16 v7, v7, v18, -v13
	v_add_nc_u32_e32 v13, 0x1000, v31
	v_cndmask_b32_e32 v10, v16, v10, vcc_lo
	v_cmp_ne_u32_e32 vcc_lo, v21, v19
	v_add_nc_u32_e32 v16, 0xfffffc10, v20
	v_lshrrev_b32_e32 v19, 8, v9
	v_bfe_u32 v20, v9, 20, 11
	v_and_or_b32 v10, 0x8000, v11, v10
	v_cndmask_b32_e64 v12, 0, 1, vcc_lo
	v_cmp_ne_u32_e32 vcc_lo, 0, v8
	v_lshrrev_b32_e32 v9, 16, v9
	v_lshl_or_b32 v17, v10, 16, v17
	v_or_b32_e32 v11, v22, v12
	v_lshl_or_b32 v12, v16, 12, v2
	v_cndmask_b32_e64 v8, 0, 1, vcc_lo
	v_cmp_gt_i32_e32 vcc_lo, 1, v16
	v_and_or_b32 v8, 0xffe, v19, v8
	v_cndmask_b32_e32 v12, v12, v11, vcc_lo
	v_sub_nc_u32_e32 v11, 0x3f1, v20
	v_mul_f64 v[0:1], v[0:1], s[18:19]
	v_add_co_u32 v10, vcc_lo, v14, s20
	v_or_b32_e32 v19, 0x1000, v8
	v_med3_i32 v21, v11, 0, 13
	v_and_b32_e32 v6, 7, v12
	v_add_co_ci_u32_e32 v11, vcc_lo, s17, v15, vcc_lo
	v_cvt_f32_f16_e32 v15, v7
	v_lshrrev_b32_e32 v14, v21, v19
	v_cmp_lt_i32_e32 vcc_lo, 5, v6
	v_cmp_eq_u32_e64 s0, 3, v6
	v_lshrrev_b32_e32 v6, 2, v12
	v_lshlrev_b32_e32 v12, v21, v14
	s_or_b32 vcc_lo, s0, vcc_lo
	v_add_co_ci_u32_e32 v18, vcc_lo, 0, v6, vcc_lo
	v_cmp_ne_u32_e32 vcc_lo, v12, v19
	ds_read2_b32 v[6:7], v13 offset0:56 offset1:176
	v_and_or_b32 v0, 0x1ff, v1, v0
	v_cvt_f64_f32_e32 v[12:13], v15
	v_add_nc_u32_e32 v15, 0xfffffc10, v20
	v_cndmask_b32_e64 v19, 0, 1, vcc_lo
	v_cmp_gt_i32_e32 vcc_lo, 31, v16
	v_lshrrev_b32_e32 v20, 8, v1
	v_bfe_u32 v21, v1, 20, 11
	v_or_b32_e32 v14, v14, v19
	v_cndmask_b32_e32 v18, 0x7c00, v18, vcc_lo
	v_cmp_ne_u32_e32 vcc_lo, 0, v0
	v_lshl_or_b32 v19, v15, 12, v8
	v_cndmask_b32_e64 v0, 0, 1, vcc_lo
	v_cmp_ne_u32_e32 vcc_lo, 0, v2
	v_and_or_b32 v0, 0xffe, v20, v0
	v_cndmask_b32_e64 v2, 0, 1, vcc_lo
	v_cmp_gt_i32_e32 vcc_lo, 1, v15
	s_waitcnt lgkmcnt(0)
	v_lshrrev_b32_e32 v20, 16, v6
	v_mul_f64 v[12:13], v[12:13], s[18:19]
	v_or_b32_e32 v23, 0x1000, v0
	v_lshl_or_b32 v2, v2, 9, 0x7c00
	v_cndmask_b32_e32 v14, v19, v14, vcc_lo
	v_sub_nc_u32_e32 v19, 0x3f1, v21
	v_cmp_eq_u32_e32 vcc_lo, 0x40f, v16
	s_waitcnt vmcnt(1)
	v_mul_f16_sdwa v24, v20, v4 dst_sel:DWORD dst_unused:UNUSED_PAD src0_sel:DWORD src1_sel:WORD_1
	v_add_nc_u32_e32 v21, 0xfffffc10, v21
	v_and_b32_e32 v22, 7, v14
	v_med3_i32 v19, v19, 0, 13
	v_cndmask_b32_e32 v2, v18, v2, vcc_lo
	v_fmac_f16_e32 v24, v6, v4
	v_mul_f16_sdwa v6, v6, v4 dst_sel:DWORD dst_unused:UNUSED_PAD src0_sel:DWORD src1_sel:WORD_1
	v_cmp_lt_i32_e32 vcc_lo, 5, v22
	v_lshrrev_b32_e32 v16, v19, v23
	v_cmp_eq_u32_e64 s0, 3, v22
	v_and_or_b32 v18, 0x8000, v3, v2
	v_lshrrev_b32_e32 v2, 2, v14
	v_cvt_f32_f16_e32 v14, v24
	v_lshlrev_b32_e32 v3, v19, v16
	s_or_b32 vcc_lo, s0, vcc_lo
	v_fma_f16 v4, v4, v20, -v6
	v_add_co_ci_u32_e32 v19, vcc_lo, 0, v2, vcc_lo
	v_cmp_ne_u32_e32 vcc_lo, v3, v23
	v_cvt_f64_f32_e32 v[2:3], v14
	v_and_or_b32 v12, 0x1ff, v13, v12
	v_cvt_f32_f16_e32 v4, v4
	v_lshrrev_b32_e32 v20, 16, v7
	v_cndmask_b32_e64 v22, 0, 1, vcc_lo
	v_cmp_ne_u32_e32 vcc_lo, 0, v8
	v_or_b32_e32 v14, v16, v22
	v_cndmask_b32_e64 v8, 0, 1, vcc_lo
	v_cmp_gt_i32_e32 vcc_lo, 31, v15
	v_lshl_or_b32 v16, v21, 12, v0
	v_bfe_u32 v22, v13, 20, 11
	v_lshl_or_b32 v8, v8, 9, 0x7c00
	v_cndmask_b32_e32 v19, 0x7c00, v19, vcc_lo
	v_cmp_gt_i32_e32 vcc_lo, 1, v21
	v_cndmask_b32_e32 v14, v16, v14, vcc_lo
	v_cmp_ne_u32_e32 vcc_lo, 0, v12
	v_lshrrev_b32_e32 v16, 8, v13
	v_mul_f64 v[2:3], v[2:3], s[18:19]
	v_lshrrev_b32_e32 v13, 16, v13
	v_and_b32_e32 v23, 7, v14
	v_cndmask_b32_e64 v12, 0, 1, vcc_lo
	v_cmp_eq_u32_e32 vcc_lo, 0x40f, v15
	v_sub_nc_u32_e32 v15, 0x3f1, v22
	v_cmp_eq_u32_e64 s0, 3, v23
	v_and_or_b32 v12, 0xffe, v16, v12
	v_cndmask_b32_e32 v8, v19, v8, vcc_lo
	v_cmp_lt_i32_e32 vcc_lo, 5, v23
	v_med3_i32 v15, v15, 0, 13
	s_waitcnt vmcnt(0)
	v_mul_f16_sdwa v23, v20, v5 dst_sel:DWORD dst_unused:UNUSED_PAD src0_sel:DWORD src1_sel:WORD_1
	v_or_b32_e32 v16, 0x1000, v12
	v_and_or_b32 v8, 0x8000, v9, v8
	v_lshrrev_b32_e32 v9, 2, v14
	s_or_b32 vcc_lo, s0, vcc_lo
	v_and_b32_e32 v14, 0xffff, v18
	v_lshrrev_b32_e32 v18, v15, v16
	v_fmac_f16_e32 v23, v7, v5
	v_add_co_ci_u32_e32 v9, vcc_lo, 0, v9, vcc_lo
	v_cmp_ne_u32_e32 vcc_lo, 0, v0
	v_lshl_or_b32 v19, v8, 16, v14
	v_lshlrev_b32_e32 v8, v15, v18
	v_and_or_b32 v2, 0x1ff, v3, v2
	v_lshrrev_b32_e32 v15, 8, v3
	v_cndmask_b32_e64 v0, 0, 1, vcc_lo
	v_cmp_gt_i32_e32 vcc_lo, 31, v21
	v_mul_f16_sdwa v7, v7, v5 dst_sel:DWORD dst_unused:UNUSED_PAD src0_sel:DWORD src1_sel:WORD_1
	v_lshl_or_b32 v0, v0, 9, 0x7c00
	v_cndmask_b32_e32 v9, 0x7c00, v9, vcc_lo
	v_cmp_ne_u32_e32 vcc_lo, v8, v16
	v_add_nc_u32_e32 v16, 0xfffffc10, v22
	v_fma_f16 v5, v5, v20, -v7
	v_cndmask_b32_e64 v8, 0, 1, vcc_lo
	v_cmp_eq_u32_e32 vcc_lo, 0x40f, v21
	v_lshl_or_b32 v14, v16, 12, v12
	v_cvt_f32_f16_e32 v5, v5
	v_cndmask_b32_e32 v6, v9, v0, vcc_lo
	v_cmp_ne_u32_e32 vcc_lo, 0, v2
	v_or_b32_e32 v0, v18, v8
	v_bfe_u32 v18, v3, 20, 11
	v_cvt_f64_f32_e32 v[8:9], v4
	v_lshrrev_b32_e32 v3, 16, v3
	v_cndmask_b32_e64 v2, 0, 1, vcc_lo
	v_cmp_gt_i32_e32 vcc_lo, 1, v16
	v_and_or_b32 v2, 0xffe, v15, v2
	v_cndmask_b32_e32 v4, v14, v0, vcc_lo
	v_sub_nc_u32_e32 v0, 0x3f1, v18
	v_lshrrev_b32_e32 v14, 16, v1
	v_add_nc_u32_e32 v18, 0xfffffc10, v18
	v_or_b32_e32 v21, 0x1000, v2
	v_and_b32_e32 v15, 7, v4
	v_med3_i32 v22, v0, 0, 13
	v_add_co_u32 v0, vcc_lo, v10, s20
	v_and_or_b32 v24, 0x8000, v14, v6
	v_add_co_ci_u32_e32 v1, vcc_lo, s17, v11, vcc_lo
	v_lshrrev_b32_e32 v6, v22, v21
	v_cmp_lt_i32_e32 vcc_lo, 5, v15
	v_cmp_eq_u32_e64 s0, 3, v15
	v_lshrrev_b32_e32 v4, 2, v4
	v_cvt_f32_f16_e32 v14, v23
	v_lshlrev_b32_e32 v22, v22, v6
	v_mul_f64 v[8:9], v[8:9], s[18:19]
	s_or_b32 vcc_lo, s0, vcc_lo
	v_add_co_ci_u32_e32 v4, vcc_lo, 0, v4, vcc_lo
	v_cmp_ne_u32_e32 vcc_lo, v22, v21
	v_cvt_f64_f32_e32 v[14:15], v14
	v_cndmask_b32_e64 v21, 0, 1, vcc_lo
	v_cmp_ne_u32_e32 vcc_lo, 0, v12
	v_or_b32_e32 v6, v6, v21
	v_cndmask_b32_e64 v12, 0, 1, vcc_lo
	v_cmp_gt_i32_e32 vcc_lo, 31, v16
	v_lshl_or_b32 v21, v18, 12, v2
	v_lshl_or_b32 v7, v12, 9, 0x7c00
	v_cndmask_b32_e32 v4, 0x7c00, v4, vcc_lo
	v_cmp_gt_i32_e32 vcc_lo, 1, v18
	v_and_or_b32 v8, 0x1ff, v9, v8
	v_cndmask_b32_e32 v12, v21, v6, vcc_lo
	v_cmp_eq_u32_e32 vcc_lo, 0x40f, v16
	v_and_b32_e32 v20, 7, v12
	v_cndmask_b32_e32 v16, v4, v7, vcc_lo
	v_mul_f64 v[6:7], v[14:15], s[18:19]
	v_cvt_f64_f32_e32 v[4:5], v5
	v_cmp_ne_u32_e32 vcc_lo, 0, v8
	v_lshrrev_b32_e32 v14, 8, v9
	v_bfe_u32 v15, v9, 20, 11
	v_cmp_eq_u32_e64 s0, 3, v20
	v_lshrrev_b32_e32 v12, 2, v12
	v_cndmask_b32_e64 v8, 0, 1, vcc_lo
	v_cmp_lt_i32_e32 vcc_lo, 5, v20
	v_and_or_b32 v13, 0x8000, v13, v16
	v_and_b32_e32 v16, 0xffff, v24
	v_lshrrev_b32_e32 v9, 16, v9
	v_and_or_b32 v8, 0xffe, v14, v8
	v_sub_nc_u32_e32 v14, 0x3f1, v15
	s_or_b32 vcc_lo, s0, vcc_lo
	v_lshl_or_b32 v13, v13, 16, v16
	v_add_co_ci_u32_e32 v12, vcc_lo, 0, v12, vcc_lo
	v_or_b32_e32 v16, 0x1000, v8
	v_med3_i32 v14, v14, 0, 13
	v_cmp_ne_u32_e32 vcc_lo, 0, v2
	v_add_nc_u32_e32 v15, 0xfffffc10, v15
	v_and_or_b32 v6, 0x1ff, v7, v6
	v_mul_f64 v[4:5], v[4:5], s[18:19]
	v_lshrrev_b32_e32 v20, v14, v16
	v_cndmask_b32_e64 v2, 0, 1, vcc_lo
	v_cmp_gt_i32_e32 vcc_lo, 31, v18
	v_lshrrev_b32_e32 v21, 8, v7
	v_bfe_u32 v22, v7, 20, 11
	v_lshlrev_b32_e32 v14, v14, v20
	v_lshl_or_b32 v2, v2, 9, 0x7c00
	v_cndmask_b32_e32 v12, 0x7c00, v12, vcc_lo
	v_cmp_ne_u32_e32 vcc_lo, 0, v6
	v_lshrrev_b32_e32 v7, 16, v7
	v_cndmask_b32_e64 v6, 0, 1, vcc_lo
	v_cmp_ne_u32_e32 vcc_lo, v14, v16
	v_sub_nc_u32_e32 v16, 0x3f1, v22
	v_and_or_b32 v6, 0xffe, v21, v6
	v_cndmask_b32_e64 v14, 0, 1, vcc_lo
	v_cmp_eq_u32_e32 vcc_lo, 0x40f, v18
	v_med3_i32 v16, v16, 0, 13
	v_and_or_b32 v4, 0x1ff, v5, v4
	v_or_b32_e32 v18, 0x1000, v6
	v_bfe_u32 v21, v5, 20, 11
	v_cndmask_b32_e32 v2, v12, v2, vcc_lo
	v_or_b32_e32 v12, v20, v14
	v_lshl_or_b32 v14, v15, 12, v8
	v_cmp_gt_i32_e32 vcc_lo, 1, v15
	v_lshrrev_b32_e32 v20, 8, v5
	v_and_or_b32 v2, 0x8000, v3, v2
	v_lshrrev_b32_e32 v5, 16, v5
	v_cndmask_b32_e32 v12, v14, v12, vcc_lo
	v_lshrrev_b32_e32 v14, v16, v18
	v_cmp_ne_u32_e32 vcc_lo, 0, v4
	v_and_b32_e32 v23, 7, v12
	v_lshlrev_b32_e32 v16, v16, v14
	v_cndmask_b32_e64 v4, 0, 1, vcc_lo
	v_lshrrev_b32_e32 v12, 2, v12
	v_cmp_lt_i32_e32 vcc_lo, 5, v23
	v_cmp_ne_u32_e64 s0, v16, v18
	v_and_or_b32 v3, 0xffe, v20, v4
	v_sub_nc_u32_e32 v4, 0x3f1, v21
	v_add_nc_u32_e32 v20, 0xfffffc10, v22
	v_cndmask_b32_e64 v16, 0, 1, s0
	v_cmp_eq_u32_e64 s0, 3, v23
	v_or_b32_e32 v18, 0x1000, v3
	v_med3_i32 v4, v4, 0, 13
	v_lshl_or_b32 v22, v20, 12, v6
	v_or_b32_e32 v14, v14, v16
	s_or_b32 vcc_lo, s0, vcc_lo
	v_add_co_ci_u32_e32 v12, vcc_lo, 0, v12, vcc_lo
	v_lshrrev_b32_e32 v16, v4, v18
	v_cmp_gt_i32_e32 vcc_lo, 1, v20
	v_lshlrev_b32_e32 v4, v4, v16
	v_cndmask_b32_e32 v14, v22, v14, vcc_lo
	v_cmp_ne_u32_e32 vcc_lo, 0, v8
	v_cndmask_b32_e64 v8, 0, 1, vcc_lo
	v_cmp_ne_u32_e32 vcc_lo, v4, v18
	v_add_nc_u32_e32 v18, 0xfffffc10, v21
	v_and_b32_e32 v21, 7, v14
	v_lshl_or_b32 v8, v8, 9, 0x7c00
	v_cndmask_b32_e64 v4, 0, 1, vcc_lo
	v_cmp_gt_i32_e32 vcc_lo, 31, v15
	v_cmp_gt_i32_e64 s1, 1, v18
	v_cmp_eq_u32_e64 s0, 3, v21
	v_or_b32_e32 v4, v16, v4
	v_lshl_or_b32 v16, v18, 12, v3
	v_cndmask_b32_e32 v12, 0x7c00, v12, vcc_lo
	v_cmp_lt_i32_e32 vcc_lo, 5, v21
	v_cndmask_b32_e64 v4, v16, v4, s1
	v_cmp_eq_u32_e64 s1, 0x40f, v15
	s_or_b32 vcc_lo, s0, vcc_lo
	v_cndmask_b32_e64 v8, v12, v8, s1
	v_lshrrev_b32_e32 v12, 2, v14
	v_and_b32_e32 v14, 7, v4
	v_lshrrev_b32_e32 v4, 2, v4
	v_cmp_gt_i32_e64 s1, 31, v20
	v_and_or_b32 v8, 0x8000, v9, v8
	v_add_co_ci_u32_e32 v12, vcc_lo, 0, v12, vcc_lo
	v_cmp_ne_u32_e32 vcc_lo, 0, v6
	v_cmp_eq_u32_e64 s0, 3, v14
	v_and_b32_e32 v9, 0xffff, v2
	v_cndmask_b32_e64 v12, 0x7c00, v12, s1
	v_cndmask_b32_e64 v6, 0, 1, vcc_lo
	v_cmp_lt_i32_e32 vcc_lo, 5, v14
	v_lshl_or_b32 v8, v8, 16, v9
	v_lshl_or_b32 v6, v6, 9, 0x7c00
	s_or_b32 vcc_lo, s0, vcc_lo
	v_add_co_ci_u32_e32 v4, vcc_lo, 0, v4, vcc_lo
	v_cmp_ne_u32_e32 vcc_lo, 0, v3
	v_cndmask_b32_e64 v3, 0, 1, vcc_lo
	v_cmp_eq_u32_e32 vcc_lo, 0x40f, v20
	v_lshl_or_b32 v3, v3, 9, 0x7c00
	v_cndmask_b32_e32 v6, v12, v6, vcc_lo
	v_cmp_gt_i32_e32 vcc_lo, 31, v18
	v_and_or_b32 v6, 0x8000, v7, v6
	v_cndmask_b32_e32 v4, 0x7c00, v4, vcc_lo
	v_cmp_eq_u32_e32 vcc_lo, 0x40f, v18
	v_and_b32_e32 v6, 0xffff, v6
	v_cndmask_b32_e32 v4, v4, v3, vcc_lo
	v_add_co_u32 v2, vcc_lo, v0, s20
	v_add_co_ci_u32_e32 v3, vcc_lo, s17, v1, vcc_lo
	v_and_or_b32 v7, 0x8000, v5, v4
	v_add_co_u32 v4, vcc_lo, v2, s20
	v_add_co_ci_u32_e32 v5, vcc_lo, s17, v3, vcc_lo
	v_lshl_or_b32 v9, v7, 16, v6
	v_add_co_u32 v6, vcc_lo, v4, s20
	v_add_co_ci_u32_e32 v7, vcc_lo, s17, v5, vcc_lo
	global_store_dword v[10:11], v17, off
	global_store_dword v[0:1], v19, off
	global_store_dword v[2:3], v13, off
	global_store_dword v[4:5], v8, off
	global_store_dword v[6:7], v9, off
.LBB0_31:
	s_endpgm
	.section	.rodata,"a",@progbits
	.p2align	6, 0x0
	.amdhsa_kernel bluestein_single_back_len1320_dim1_half_op_CI_CI
		.amdhsa_group_segment_fixed_size 5280
		.amdhsa_private_segment_fixed_size 0
		.amdhsa_kernarg_size 104
		.amdhsa_user_sgpr_count 6
		.amdhsa_user_sgpr_private_segment_buffer 1
		.amdhsa_user_sgpr_dispatch_ptr 0
		.amdhsa_user_sgpr_queue_ptr 0
		.amdhsa_user_sgpr_kernarg_segment_ptr 1
		.amdhsa_user_sgpr_dispatch_id 0
		.amdhsa_user_sgpr_flat_scratch_init 0
		.amdhsa_user_sgpr_private_segment_size 0
		.amdhsa_wavefront_size32 1
		.amdhsa_uses_dynamic_stack 0
		.amdhsa_system_sgpr_private_segment_wavefront_offset 0
		.amdhsa_system_sgpr_workgroup_id_x 1
		.amdhsa_system_sgpr_workgroup_id_y 0
		.amdhsa_system_sgpr_workgroup_id_z 0
		.amdhsa_system_sgpr_workgroup_info 0
		.amdhsa_system_vgpr_workitem_id 0
		.amdhsa_next_free_vgpr 146
		.amdhsa_next_free_sgpr 21
		.amdhsa_reserve_vcc 1
		.amdhsa_reserve_flat_scratch 0
		.amdhsa_float_round_mode_32 0
		.amdhsa_float_round_mode_16_64 0
		.amdhsa_float_denorm_mode_32 3
		.amdhsa_float_denorm_mode_16_64 3
		.amdhsa_dx10_clamp 1
		.amdhsa_ieee_mode 1
		.amdhsa_fp16_overflow 0
		.amdhsa_workgroup_processor_mode 1
		.amdhsa_memory_ordered 1
		.amdhsa_forward_progress 0
		.amdhsa_shared_vgpr_count 0
		.amdhsa_exception_fp_ieee_invalid_op 0
		.amdhsa_exception_fp_denorm_src 0
		.amdhsa_exception_fp_ieee_div_zero 0
		.amdhsa_exception_fp_ieee_overflow 0
		.amdhsa_exception_fp_ieee_underflow 0
		.amdhsa_exception_fp_ieee_inexact 0
		.amdhsa_exception_int_div_zero 0
	.end_amdhsa_kernel
	.text
.Lfunc_end0:
	.size	bluestein_single_back_len1320_dim1_half_op_CI_CI, .Lfunc_end0-bluestein_single_back_len1320_dim1_half_op_CI_CI
                                        ; -- End function
	.section	.AMDGPU.csdata,"",@progbits
; Kernel info:
; codeLenInByte = 19884
; NumSgprs: 23
; NumVgprs: 146
; ScratchSize: 0
; MemoryBound: 0
; FloatMode: 240
; IeeeMode: 1
; LDSByteSize: 5280 bytes/workgroup (compile time only)
; SGPRBlocks: 2
; VGPRBlocks: 18
; NumSGPRsForWavesPerEU: 23
; NumVGPRsForWavesPerEU: 146
; Occupancy: 6
; WaveLimiterHint : 1
; COMPUTE_PGM_RSRC2:SCRATCH_EN: 0
; COMPUTE_PGM_RSRC2:USER_SGPR: 6
; COMPUTE_PGM_RSRC2:TRAP_HANDLER: 0
; COMPUTE_PGM_RSRC2:TGID_X_EN: 1
; COMPUTE_PGM_RSRC2:TGID_Y_EN: 0
; COMPUTE_PGM_RSRC2:TGID_Z_EN: 0
; COMPUTE_PGM_RSRC2:TIDIG_COMP_CNT: 0
	.text
	.p2alignl 6, 3214868480
	.fill 48, 4, 3214868480
	.type	__hip_cuid_fc12a1480f92504,@object ; @__hip_cuid_fc12a1480f92504
	.section	.bss,"aw",@nobits
	.globl	__hip_cuid_fc12a1480f92504
__hip_cuid_fc12a1480f92504:
	.byte	0                               ; 0x0
	.size	__hip_cuid_fc12a1480f92504, 1

	.ident	"AMD clang version 19.0.0git (https://github.com/RadeonOpenCompute/llvm-project roc-6.4.0 25133 c7fe45cf4b819c5991fe208aaa96edf142730f1d)"
	.section	".note.GNU-stack","",@progbits
	.addrsig
	.addrsig_sym __hip_cuid_fc12a1480f92504
	.amdgpu_metadata
---
amdhsa.kernels:
  - .args:
      - .actual_access:  read_only
        .address_space:  global
        .offset:         0
        .size:           8
        .value_kind:     global_buffer
      - .actual_access:  read_only
        .address_space:  global
        .offset:         8
        .size:           8
        .value_kind:     global_buffer
      - .actual_access:  read_only
        .address_space:  global
        .offset:         16
        .size:           8
        .value_kind:     global_buffer
      - .actual_access:  read_only
        .address_space:  global
        .offset:         24
        .size:           8
        .value_kind:     global_buffer
      - .actual_access:  read_only
        .address_space:  global
        .offset:         32
        .size:           8
        .value_kind:     global_buffer
      - .offset:         40
        .size:           8
        .value_kind:     by_value
      - .address_space:  global
        .offset:         48
        .size:           8
        .value_kind:     global_buffer
      - .address_space:  global
        .offset:         56
        .size:           8
        .value_kind:     global_buffer
      - .address_space:  global
        .offset:         64
        .size:           8
        .value_kind:     global_buffer
      - .address_space:  global
        .offset:         72
        .size:           8
        .value_kind:     global_buffer
      - .offset:         80
        .size:           4
        .value_kind:     by_value
      - .address_space:  global
        .offset:         88
        .size:           8
        .value_kind:     global_buffer
      - .address_space:  global
        .offset:         96
        .size:           8
        .value_kind:     global_buffer
    .group_segment_fixed_size: 5280
    .kernarg_segment_align: 8
    .kernarg_segment_size: 104
    .language:       OpenCL C
    .language_version:
      - 2
      - 0
    .max_flat_workgroup_size: 165
    .name:           bluestein_single_back_len1320_dim1_half_op_CI_CI
    .private_segment_fixed_size: 0
    .sgpr_count:     23
    .sgpr_spill_count: 0
    .symbol:         bluestein_single_back_len1320_dim1_half_op_CI_CI.kd
    .uniform_work_group_size: 1
    .uses_dynamic_stack: false
    .vgpr_count:     146
    .vgpr_spill_count: 0
    .wavefront_size: 32
    .workgroup_processor_mode: 1
amdhsa.target:   amdgcn-amd-amdhsa--gfx1030
amdhsa.version:
  - 1
  - 2
...

	.end_amdgpu_metadata
